;; amdgpu-corpus repo=ROCm/rocFFT kind=compiled arch=gfx950 opt=O3
	.text
	.amdgcn_target "amdgcn-amd-amdhsa--gfx950"
	.amdhsa_code_object_version 6
	.protected	bluestein_single_fwd_len476_dim1_sp_op_CI_CI ; -- Begin function bluestein_single_fwd_len476_dim1_sp_op_CI_CI
	.globl	bluestein_single_fwd_len476_dim1_sp_op_CI_CI
	.p2align	8
	.type	bluestein_single_fwd_len476_dim1_sp_op_CI_CI,@function
bluestein_single_fwd_len476_dim1_sp_op_CI_CI: ; @bluestein_single_fwd_len476_dim1_sp_op_CI_CI
; %bb.0:
	s_load_dwordx4 s[8:11], s[0:1], 0x28
	v_mul_u32_u24_e32 v1, 0x788, v0
	v_lshrrev_b32_e32 v2, 16, v1
	v_mad_u64_u32 v[188:189], s[2:3], s2, 3, v[2:3]
	v_mov_b32_e32 v45, 0
	v_mov_b32_e32 v189, v45
	s_waitcnt lgkmcnt(0)
	v_cmp_gt_u64_e32 vcc, s[8:9], v[188:189]
	s_and_saveexec_b64 s[2:3], vcc
	s_cbranch_execz .LBB0_15
; %bb.1:
	v_mul_lo_u16_e32 v1, 34, v2
	s_mov_b32 s4, 0xaaaaaaab
	v_sub_u16_e32 v44, v0, v1
	v_mul_hi_u32 v0, v188, s4
	s_load_dwordx2 s[2:3], s[0:1], 0x0
	s_load_dwordx2 s[8:9], s[0:1], 0x38
	v_lshrrev_b32_e32 v0, 1, v0
	v_lshl_add_u32 v0, v0, 1, v0
	v_sub_u32_e32 v0, v188, v0
	v_mul_u32_u24_e32 v186, 0x1dc, v0
	v_cmp_gt_u16_e32 vcc, 28, v44
	v_lshlrev_b32_e32 v179, 3, v44
	v_lshlrev_b32_e32 v178, 3, v186
	s_and_saveexec_b64 s[12:13], vcc
	s_cbranch_execz .LBB0_3
; %bb.2:
	s_load_dwordx2 s[4:5], s[0:1], 0x18
	v_mov_b32_e32 v0, s10
	v_mov_b32_e32 v1, s11
	;; [unrolled: 1-line block ×3, first 2 shown]
	v_or_b32_e32 v29, 0xe0, v44
	s_waitcnt lgkmcnt(0)
	s_load_dwordx4 s[4:7], s[4:5], 0x0
	v_mov_b32_e32 v47, 0x1c0
	v_or_b32_e32 v31, 0x1c0, v44
	s_waitcnt lgkmcnt(0)
	v_mad_u64_u32 v[2:3], s[10:11], s6, v188, 0
	v_mad_u64_u32 v[4:5], s[10:11], s4, v44, 0
	v_mov_b32_e32 v6, v3
	v_mov_b32_e32 v8, v5
	v_mad_u64_u32 v[6:7], s[6:7], s7, v188, v[6:7]
	v_mov_b32_e32 v3, v6
	v_mad_u64_u32 v[6:7], s[6:7], s5, v44, v[8:9]
	v_mov_b32_e32 v5, v6
	v_lshl_add_u64 v[2:3], v[2:3], 3, v[0:1]
	v_lshl_add_u64 v[4:5], v[4:5], 3, v[2:3]
	v_mad_u64_u32 v[18:19], s[6:7], s4, v46, v[4:5]
	s_mul_i32 s6, s5, 0xe0
	s_nop 0
	v_add_u32_e32 v19, s6, v19
	v_mad_u64_u32 v[20:21], s[10:11], s4, v46, v[18:19]
	v_add_u32_e32 v21, s6, v21
	global_load_dwordx2 v[0:1], v[4:5], off
	global_load_dwordx2 v[8:9], v179, s[2:3]
	s_nop 0
	global_load_dwordx2 v[4:5], v179, s[2:3] offset:224
	global_load_dwordx2 v[6:7], v179, s[2:3] offset:448
	;; [unrolled: 1-line block ×7, first 2 shown]
	global_load_dwordx2 v[32:33], v[20:21], off
	v_mad_u64_u32 v[20:21], s[10:11], s4, v46, v[20:21]
	global_load_dwordx2 v[18:19], v[18:19], off
	v_add_u32_e32 v21, s6, v21
	global_load_dwordx2 v[34:35], v[20:21], off
	v_mad_u64_u32 v[20:21], s[10:11], s4, v46, v[20:21]
	v_add_u32_e32 v21, s6, v21
	global_load_dwordx2 v[36:37], v[20:21], off
	v_mad_u64_u32 v[20:21], s[10:11], s4, v46, v[20:21]
	;; [unrolled: 3-line block ×3, first 2 shown]
	v_mad_u64_u32 v[24:25], s[10:11], s4, v29, 0
	v_add_u32_e32 v21, s6, v21
	v_mov_b32_e32 v28, v25
	global_load_dwordx2 v[40:41], v[20:21], off
	v_mad_u64_u32 v[20:21], s[10:11], s4, v46, v[20:21]
	v_mad_u64_u32 v[28:29], s[10:11], s5, v29, v[28:29]
	v_add_u32_e32 v21, s6, v21
	s_mul_i32 s7, s5, 0x1c0
	v_mov_b32_e32 v25, v28
	global_load_dwordx2 v[28:29], v[20:21], off
	v_mad_u64_u32 v[20:21], s[10:11], s4, v47, v[20:21]
	v_lshl_add_u64 v[24:25], v[24:25], 3, v[2:3]
	v_add_u32_e32 v21, s7, v21
	global_load_dwordx2 v[42:43], v[24:25], off
	global_load_dwordx2 v[48:49], v179, s[2:3] offset:1792
	s_nop 0
	global_load_dwordx2 v[24:25], v[20:21], off
	global_load_dwordx2 v[50:51], v179, s[2:3] offset:2016
	v_mad_u64_u32 v[20:21], s[10:11], s4, v46, v[20:21]
	v_add_u32_e32 v21, s6, v21
	global_load_dwordx2 v[52:53], v[20:21], off
	global_load_dwordx2 v[54:55], v179, s[2:3] offset:2240
	v_mad_u64_u32 v[20:21], s[10:11], s4, v46, v[20:21]
	v_add_u32_e32 v21, s6, v21
	;; [unrolled: 4-line block ×3, first 2 shown]
	global_load_dwordx2 v[60:61], v[20:21], off
	global_load_dwordx2 v[62:63], v179, s[2:3] offset:2688
	v_mad_u64_u32 v[20:21], s[10:11], s4, v46, v[20:21]
	v_mad_u64_u32 v[26:27], s[10:11], s4, v31, 0
	v_add_u32_e32 v21, s6, v21
	v_mov_b32_e32 v30, v27
	global_load_dwordx2 v[64:65], v[20:21], off
	global_load_dwordx2 v[66:67], v179, s[2:3] offset:2912
	v_mad_u64_u32 v[20:21], s[10:11], s4, v46, v[20:21]
	v_mad_u64_u32 v[30:31], s[10:11], s5, v31, v[30:31]
	v_add_u32_e32 v21, s6, v21
	global_load_dwordx2 v[68:69], v[20:21], off
	global_load_dwordx2 v[70:71], v179, s[2:3] offset:3136
	v_mad_u64_u32 v[20:21], s[4:5], s4, v46, v[20:21]
	v_mov_b32_e32 v27, v30
	v_add_u32_e32 v21, s6, v21
	v_lshl_add_u64 v[2:3], v[26:27], 3, v[2:3]
	global_load_dwordx2 v[72:73], v[20:21], off
	global_load_dwordx2 v[74:75], v179, s[2:3] offset:3360
	s_nop 0
	global_load_dwordx2 v[20:21], v[2:3], off
	global_load_dwordx2 v[26:27], v179, s[2:3] offset:3584
	v_lshl_add_u32 v30, v44, 3, v178
	s_waitcnt vmcnt(32)
	v_mul_f32_e32 v2, v1, v9
	v_mul_f32_e32 v3, v0, v9
	v_fmac_f32_e32 v2, v0, v8
	v_fma_f32 v3, v1, v8, -v3
	ds_write_b64 v30, v[2:3]
	s_waitcnt vmcnt(24)
	v_mul_f32_e32 v2, v32, v7
	s_waitcnt vmcnt(23)
	v_mul_f32_e32 v0, v19, v5
	v_mul_f32_e32 v1, v18, v5
	v_fma_f32 v3, v33, v6, -v2
	v_mul_f32_e32 v2, v33, v7
	v_fmac_f32_e32 v0, v18, v4
	v_fma_f32 v1, v19, v4, -v1
	v_fmac_f32_e32 v2, v32, v6
	v_add_u32_e32 v4, v178, v179
	ds_write2_b64 v4, v[0:1], v[2:3] offset0:28 offset1:56
	s_waitcnt vmcnt(22)
	v_mul_f32_e32 v0, v35, v11
	v_mul_f32_e32 v1, v34, v11
	s_waitcnt vmcnt(21)
	v_mul_f32_e32 v2, v37, v13
	v_mul_f32_e32 v3, v36, v13
	v_fmac_f32_e32 v0, v34, v10
	v_fma_f32 v1, v35, v10, -v1
	v_fmac_f32_e32 v2, v36, v12
	v_fma_f32 v3, v37, v12, -v3
	ds_write2_b64 v4, v[0:1], v[2:3] offset0:84 offset1:112
	s_waitcnt vmcnt(20)
	v_mul_f32_e32 v0, v39, v15
	v_mul_f32_e32 v1, v38, v15
	s_waitcnt vmcnt(19)
	v_mul_f32_e32 v2, v41, v17
	v_mul_f32_e32 v3, v40, v17
	v_fmac_f32_e32 v0, v38, v14
	v_fma_f32 v1, v39, v14, -v1
	v_fmac_f32_e32 v2, v40, v16
	v_fma_f32 v3, v41, v16, -v3
	ds_write2_b64 v4, v[0:1], v[2:3] offset0:140 offset1:168
	s_waitcnt vmcnt(18)
	v_mul_f32_e32 v0, v29, v23
	v_mul_f32_e32 v1, v28, v23
	s_waitcnt vmcnt(16)
	v_mul_f32_e32 v2, v43, v49
	v_mul_f32_e32 v3, v42, v49
	v_fmac_f32_e32 v0, v28, v22
	v_fma_f32 v1, v29, v22, -v1
	v_fmac_f32_e32 v2, v42, v48
	v_fma_f32 v3, v43, v48, -v3
	ds_write2_b64 v4, v[0:1], v[2:3] offset0:196 offset1:224
	s_waitcnt vmcnt(14)
	v_mul_f32_e32 v0, v25, v51
	v_mul_f32_e32 v1, v24, v51
	s_waitcnt vmcnt(12)
	v_mul_f32_e32 v2, v53, v55
	v_mul_f32_e32 v3, v52, v55
	v_fmac_f32_e32 v0, v24, v50
	v_fma_f32 v1, v25, v50, -v1
	v_fmac_f32_e32 v2, v52, v54
	v_fma_f32 v3, v53, v54, -v3
	v_add_u32_e32 v5, 0x400, v4
	ds_write2_b64 v5, v[0:1], v[2:3] offset0:124 offset1:152
	s_waitcnt vmcnt(10)
	v_mul_f32_e32 v0, v57, v59
	v_mul_f32_e32 v1, v56, v59
	s_waitcnt vmcnt(8)
	v_mul_f32_e32 v2, v61, v63
	v_mul_f32_e32 v3, v60, v63
	v_fmac_f32_e32 v0, v56, v58
	v_fma_f32 v1, v57, v58, -v1
	v_fmac_f32_e32 v2, v60, v62
	v_fma_f32 v3, v61, v62, -v3
	v_add_u32_e32 v4, 0x800, v4
	ds_write2_b64 v4, v[0:1], v[2:3] offset0:52 offset1:80
	s_waitcnt vmcnt(6)
	v_mul_f32_e32 v0, v65, v67
	v_mul_f32_e32 v1, v64, v67
	s_waitcnt vmcnt(4)
	v_mul_f32_e32 v2, v69, v71
	v_mul_f32_e32 v3, v68, v71
	v_fmac_f32_e32 v0, v64, v66
	v_fma_f32 v1, v65, v66, -v1
	v_fmac_f32_e32 v2, v68, v70
	v_fma_f32 v3, v69, v70, -v3
	ds_write2_b64 v4, v[0:1], v[2:3] offset0:108 offset1:136
	s_waitcnt vmcnt(2)
	v_mul_f32_e32 v0, v73, v75
	v_mul_f32_e32 v1, v72, v75
	s_waitcnt vmcnt(0)
	v_mul_f32_e32 v2, v21, v27
	v_mul_f32_e32 v3, v20, v27
	v_fmac_f32_e32 v0, v72, v74
	v_fma_f32 v1, v73, v74, -v1
	v_fmac_f32_e32 v2, v20, v26
	v_fma_f32 v3, v21, v26, -v3
	ds_write2_b64 v4, v[0:1], v[2:3] offset0:164 offset1:192
.LBB0_3:
	s_or_b64 exec, exec, s[12:13]
	s_load_dwordx2 s[4:5], s[0:1], 0x20
	s_load_dwordx2 s[10:11], s[0:1], 0x8
	v_mov_b32_e32 v0, 0
	v_mov_b32_e32 v1, 0
	s_waitcnt lgkmcnt(0)
	s_barrier
	s_waitcnt lgkmcnt(0)
                                        ; implicit-def: $vgpr22
                                        ; implicit-def: $vgpr4
                                        ; implicit-def: $vgpr26
                                        ; implicit-def: $vgpr8
                                        ; implicit-def: $vgpr30
                                        ; implicit-def: $vgpr58
                                        ; implicit-def: $vgpr18
                                        ; implicit-def: $vgpr34
	s_and_saveexec_b64 s[0:1], vcc
	s_cbranch_execz .LBB0_5
; %bb.4:
	v_lshl_add_u32 v12, v186, 3, v179
	ds_read2_b64 v[0:3], v12 offset1:28
	ds_read2_b64 v[32:35], v12 offset0:56 offset1:84
	ds_read2_b64 v[28:31], v12 offset0:112 offset1:140
	;; [unrolled: 1-line block ×4, first 2 shown]
	v_add_u32_e32 v13, 0x800, v12
	ds_read2_b64 v[4:7], v13 offset0:24 offset1:52
	ds_read2_b64 v[8:11], v13 offset0:80 offset1:108
	;; [unrolled: 1-line block ×3, first 2 shown]
	ds_read_b64 v[58:59], v12 offset:3584
.LBB0_5:
	s_or_b64 exec, exec, s[0:1]
	s_mov_b32 s22, 0xbf2c7751
	s_waitcnt lgkmcnt(0)
	v_pk_add_f32 v[40:41], v[58:59], v[2:3]
	v_pk_add_f32 v[12:13], v[2:3], v[58:59] neg_lo:[0,1] neg_hi:[0,1]
	s_mov_b32 s23, 0x3f3d2fb0
	v_mov_b32_e32 v37, v41
	v_mov_b32_e32 v41, v12
	s_mov_b32 s0, s23
	s_mov_b32 s1, s22
	v_pk_mul_f32 v[68:69], v[40:41], s[0:1]
	s_mov_b32 s0, 0xbf7ee86f
	s_mov_b32 s42, 0xbf65296c
	v_pk_add_f32 v[66:67], v[18:19], v[32:33]
	v_pk_add_f32 v[70:71], v[32:33], v[18:19] neg_lo:[0,1] neg_hi:[0,1]
	s_mov_b32 s1, 0x3dbcf732
	s_mov_b32 s43, 0x3ee437d1
	v_mov_b32_e32 v36, v13
	v_mov_b32_e32 v42, v66
	;; [unrolled: 1-line block ×3, first 2 shown]
	s_mov_b32 s44, s1
	s_mov_b32 s45, s0
	;; [unrolled: 1-line block ×4, first 2 shown]
	v_pk_fma_f32 v[64:65], v[36:37], s[22:23], v[68:69]
	v_pk_fma_f32 v[12:13], v[36:37], s[22:23], v[68:69] neg_lo:[0,0,1] neg_hi:[0,0,1]
	v_mov_b32_e32 v38, v71
	v_mov_b32_e32 v39, v67
	v_pk_mul_f32 v[74:75], v[42:43], s[44:45]
	v_pk_mul_f32 v[92:93], v[40:41], s[6:7]
	s_mov_b32 s6, 0xbf4c4adb
	v_pk_fma_f32 v[72:73], v[38:39], s[0:1], v[74:75]
	v_pk_fma_f32 v[14:15], v[38:39], s[0:1], v[74:75] neg_lo:[0,0,1] neg_hi:[0,0,1]
	s_mov_b32 s7, 0xbf1a4643
	v_mov_b32_e32 v12, v64
	s_mov_b32 s46, s7
	s_mov_b32 s47, s6
	v_pk_add_f32 v[12:13], v[12:13], v[0:1]
	v_mov_b32_e32 v14, v72
	v_pk_mul_f32 v[94:95], v[42:43], s[46:47]
	v_pk_fma_f32 v[108:109], v[36:37], s[42:43], v[92:93]
	v_pk_add_f32 v[12:13], v[14:15], v[12:13]
	v_pk_fma_f32 v[14:15], v[36:37], s[42:43], v[92:93] neg_lo:[0,0,1] neg_hi:[0,0,1]
	v_pk_fma_f32 v[90:91], v[38:39], s[6:7], v[94:95]
	v_mov_b32_e32 v14, v108
	v_pk_fma_f32 v[48:49], v[38:39], s[6:7], v[94:95] neg_lo:[0,0,1] neg_hi:[0,0,1]
	v_pk_add_f32 v[14:15], v[14:15], v[0:1]
	v_mov_b32_e32 v48, v90
	v_pk_add_f32 v[50:51], v[34:35], v[16:17] neg_lo:[0,1] neg_hi:[0,1]
	v_pk_add_f32 v[14:15], v[48:49], v[14:15]
	s_mov_b32 s18, s7
	v_pk_add_f32 v[48:49], v[16:17], v[34:35]
	v_pk_mul_f32 v[52:53], v[50:51], s[6:7] op_sel_hi:[1,0]
	s_mov_b32 s12, 0x3e3c28d5
	v_pk_fma_f32 v[86:87], v[48:49], s[18:19], v[52:53] op_sel:[0,0,1] op_sel_hi:[1,0,0]
	v_pk_fma_f32 v[88:89], v[48:49], s[18:19], v[52:53] op_sel:[0,0,1] op_sel_hi:[1,0,0] neg_lo:[0,0,1] neg_hi:[0,0,1]
	v_mov_b32_e32 v52, v86
	v_mov_b32_e32 v53, v89
	v_pk_add_f32 v[12:13], v[52:53], v[12:13]
	s_mov_b32 s24, 0xbf7ba420
	v_pk_mul_f32 v[52:53], v[50:51], s[12:13] op_sel_hi:[1,0]
	s_mov_b32 s12, 0xbe3c28d5
	v_pk_fma_f32 v[122:123], v[48:49], s[24:25], v[52:53] op_sel:[0,0,1] op_sel_hi:[1,0,0]
	v_pk_fma_f32 v[84:85], v[48:49], s[24:25], v[52:53] op_sel:[0,0,1] op_sel_hi:[1,0,0] neg_lo:[0,0,1] neg_hi:[0,0,1]
	v_mov_b32_e32 v52, v122
	v_mov_b32_e32 v53, v85
	v_pk_add_f32 v[76:77], v[28:29], v[10:11] neg_lo:[0,1] neg_hi:[0,1]
	v_pk_add_f32 v[14:15], v[52:53], v[14:15]
	v_pk_add_f32 v[52:53], v[10:11], v[28:29]
	v_pk_mul_f32 v[54:55], v[76:77], s[12:13] op_sel:[1,0] op_sel_hi:[0,0]
	v_pk_fma_f32 v[100:101], v[52:53], s[24:25], v[54:55] op_sel_hi:[1,0,1]
	v_pk_fma_f32 v[102:103], v[52:53], s[24:25], v[54:55] op_sel_hi:[1,0,1] neg_lo:[0,0,1] neg_hi:[0,0,1]
	v_mov_b32_e32 v54, v100
	v_mov_b32_e32 v55, v103
	s_mov_b32 s16, 0x3f763a35
	v_pk_add_f32 v[12:13], v[54:55], v[12:13]
	s_mov_b32 s20, 0xbe8c1d8e
	v_pk_mul_f32 v[54:55], v[76:77], s[16:17] op_sel:[1,0] op_sel_hi:[0,0]
	v_pk_fma_f32 v[96:97], v[52:53], s[20:21], v[54:55] op_sel_hi:[1,0,1]
	v_pk_fma_f32 v[98:99], v[52:53], s[20:21], v[54:55] op_sel_hi:[1,0,1] neg_lo:[0,0,1] neg_hi:[0,0,1]
	v_mov_b32_e32 v54, v96
	v_mov_b32_e32 v55, v99
	s_mov_b32 s14, 0x3f06c442
	v_pk_add_f32 v[78:79], v[30:31], v[8:9] neg_lo:[0,1] neg_hi:[0,1]
	v_pk_add_f32 v[14:15], v[54:55], v[14:15]
	s_mov_b32 s30, 0xbf59a7d5
	v_pk_add_f32 v[54:55], v[8:9], v[30:31]
	v_pk_mul_f32 v[56:57], v[78:79], s[14:15] op_sel:[1,0] op_sel_hi:[0,0]
	v_pk_fma_f32 v[110:111], v[54:55], s[30:31], v[56:57] op_sel_hi:[1,0,1]
	v_pk_fma_f32 v[112:113], v[54:55], s[30:31], v[56:57] op_sel_hi:[1,0,1] neg_lo:[0,0,1] neg_hi:[0,0,1]
	v_mov_b32_e32 v56, v110
	v_mov_b32_e32 v57, v113
	s_mov_b32 s36, 0x3f2c7751
	v_pk_add_f32 v[12:13], v[56:57], v[12:13]
	s_mov_b32 s28, s23
	v_pk_mul_f32 v[56:57], v[78:79], s[36:37] op_sel:[1,0] op_sel_hi:[0,0]
	v_pk_fma_f32 v[104:105], v[54:55], s[28:29], v[56:57] op_sel_hi:[1,0,1]
	v_pk_fma_f32 v[106:107], v[54:55], s[28:29], v[56:57] op_sel_hi:[1,0,1] neg_lo:[0,0,1] neg_hi:[0,0,1]
	v_mov_b32_e32 v56, v104
	v_mov_b32_e32 v57, v107
	v_pk_add_f32 v[140:141], v[24:25], v[6:7] neg_lo:[0,1] neg_hi:[0,1]
	v_pk_add_f32 v[14:15], v[56:57], v[14:15]
	v_pk_add_f32 v[56:57], v[6:7], v[24:25]
	v_pk_mul_f32 v[60:61], v[140:141], s[16:17] op_sel:[1,0] op_sel_hi:[0,0]
	v_pk_fma_f32 v[118:119], v[56:57], s[20:21], v[60:61] op_sel_hi:[1,0,1]
	v_pk_fma_f32 v[120:121], v[56:57], s[20:21], v[60:61] op_sel_hi:[1,0,1] neg_lo:[0,0,1] neg_hi:[0,0,1]
	s_mov_b32 s40, 0xbeb8f4ab
	v_mov_b32_e32 v60, v118
	v_mov_b32_e32 v61, v121
	s_mov_b32 s41, 0x3f6eb680
	v_pk_add_f32 v[12:13], v[60:61], v[12:13]
	s_mov_b32 s48, s41
	v_pk_mul_f32 v[60:61], v[140:141], s[40:41] op_sel:[1,0] op_sel_hi:[0,0]
	v_pk_fma_f32 v[114:115], v[56:57], s[48:49], v[60:61] op_sel_hi:[1,0,1]
	v_pk_fma_f32 v[116:117], v[56:57], s[48:49], v[60:61] op_sel_hi:[1,0,1] neg_lo:[0,0,1] neg_hi:[0,0,1]
	v_mov_b32_e32 v60, v114
	v_mov_b32_e32 v61, v117
	s_mov_b32 s26, 0x3f65296c
	v_pk_add_f32 v[152:153], v[26:27], v[4:5] neg_lo:[0,1] neg_hi:[0,1]
	v_pk_add_f32 v[14:15], v[60:61], v[14:15]
	s_mov_b32 s50, s43
	v_pk_add_f32 v[60:61], v[4:5], v[26:27]
	v_pk_mul_f32 v[62:63], v[152:153], s[26:27] op_sel:[1,0] op_sel_hi:[0,0]
	v_pk_fma_f32 v[128:129], v[60:61], s[50:51], v[62:63] op_sel_hi:[1,0,1]
	v_pk_fma_f32 v[130:131], v[60:61], s[50:51], v[62:63] op_sel_hi:[1,0,1] neg_lo:[0,0,1] neg_hi:[0,0,1]
	v_mov_b32_e32 v62, v128
	v_mov_b32_e32 v63, v131
	v_pk_add_f32 v[12:13], v[62:63], v[12:13]
	s_mov_b32 s52, s1
	v_pk_mul_f32 v[62:63], v[152:153], s[0:1] op_sel:[1,0] op_sel_hi:[0,0]
	v_pk_fma_f32 v[124:125], v[60:61], s[52:53], v[62:63] op_sel_hi:[1,0,1]
	v_pk_fma_f32 v[126:127], v[60:61], s[52:53], v[62:63] op_sel_hi:[1,0,1] neg_lo:[0,0,1] neg_hi:[0,0,1]
	v_mov_b32_e32 v62, v124
	v_mov_b32_e32 v63, v127
	s_mov_b32 s38, 0x3eb8f4ab
	v_pk_add_f32 v[176:177], v[20:21], v[22:23] neg_lo:[0,1] neg_hi:[0,1]
	v_pk_add_f32 v[80:81], v[62:63], v[14:15]
	v_pk_add_f32 v[62:63], v[22:23], v[20:21]
	v_pk_mul_f32 v[14:15], v[176:177], s[38:39] op_sel:[1,0] op_sel_hi:[0,0]
	v_pk_fma_f32 v[136:137], v[62:63], s[48:49], v[14:15] op_sel_hi:[1,0,1]
	v_pk_fma_f32 v[138:139], v[62:63], s[48:49], v[14:15] op_sel_hi:[1,0,1] neg_lo:[0,0,1] neg_hi:[0,0,1]
	s_mov_b32 s34, 0xbf06c442
	v_mov_b32_e32 v14, v136
	v_mov_b32_e32 v15, v139
	v_pk_add_f32 v[14:15], v[14:15], v[12:13]
	v_pk_mul_f32 v[12:13], v[176:177], s[34:35] op_sel:[1,0] op_sel_hi:[0,0]
	v_pk_fma_f32 v[132:133], v[62:63], s[30:31], v[12:13] op_sel_hi:[1,0,1]
	v_pk_fma_f32 v[134:135], v[62:63], s[30:31], v[12:13] op_sel_hi:[1,0,1] neg_lo:[0,0,1] neg_hi:[0,0,1]
	v_mov_b32_e32 v12, v132
	v_mov_b32_e32 v13, v135
	v_pk_add_f32 v[12:13], v[12:13], v[80:81]
	v_pk_mul_f32 v[80:81], v[70:71], s[22:23] op_sel:[1,0] op_sel_hi:[0,0]
	v_pk_fma_f32 v[142:143], v[66:67], s[28:29], v[80:81] op_sel_hi:[1,0,1]
	v_pk_fma_f32 v[144:145], v[66:67], s[28:29], v[80:81] op_sel_hi:[1,0,1] neg_lo:[0,0,1] neg_hi:[0,0,1]
	s_mov_b32 s28, s41
	s_mov_b32 s29, s40
	v_pk_mul_f32 v[162:163], v[40:41], s[28:29]
	v_mov_b32_e32 v80, v142
	v_pk_fma_f32 v[160:161], v[36:37], s[40:41], v[162:163]
	v_pk_fma_f32 v[66:67], v[36:37], s[40:41], v[162:163] neg_lo:[0,0,1] neg_hi:[0,0,1]
	v_mov_b32_e32 v81, v145
	v_mov_b32_e32 v66, v160
	v_pk_add_f32 v[66:67], v[66:67], v[0:1]
	s_mov_b32 s28, 0xbf763a35
	v_pk_add_f32 v[66:67], v[80:81], v[66:67]
	v_pk_mul_f32 v[80:81], v[50:51], s[42:43] op_sel_hi:[1,0]
	v_mul_lo_u16_e32 v118, 17, v44
	v_pk_fma_f32 v[146:147], v[48:49], s[50:51], v[80:81] op_sel:[0,0,1] op_sel_hi:[1,0,0]
	v_pk_fma_f32 v[148:149], v[48:49], s[50:51], v[80:81] op_sel:[0,0,1] op_sel_hi:[1,0,0] neg_lo:[0,0,1] neg_hi:[0,0,1]
	v_mov_b32_e32 v80, v146
	v_mov_b32_e32 v81, v149
	v_pk_add_f32 v[66:67], v[80:81], v[66:67]
	v_pk_mul_f32 v[80:81], v[76:77], s[0:1] op_sel:[1,0] op_sel_hi:[0,0]
	v_pk_fma_f32 v[150:151], v[52:53], s[52:53], v[80:81] op_sel_hi:[1,0,1]
	v_pk_fma_f32 v[154:155], v[52:53], s[52:53], v[80:81] op_sel_hi:[1,0,1] neg_lo:[0,0,1] neg_hi:[0,0,1]
	v_mov_b32_e32 v80, v150
	v_mov_b32_e32 v81, v155
	v_pk_add_f32 v[66:67], v[80:81], v[66:67]
	v_pk_mul_f32 v[80:81], v[78:79], s[28:29] op_sel:[1,0] op_sel_hi:[0,0]
	v_pk_fma_f32 v[156:157], v[54:55], s[20:21], v[80:81] op_sel_hi:[1,0,1]
	v_pk_fma_f32 v[158:159], v[54:55], s[20:21], v[80:81] op_sel_hi:[1,0,1] neg_lo:[0,0,1] neg_hi:[0,0,1]
	;; [unrolled: 6-line block ×5, first 2 shown]
	v_mov_b32_e32 v80, v172
	v_mov_b32_e32 v81, v175
	v_pk_add_f32 v[66:67], v[80:81], v[66:67]
	s_barrier
	s_and_saveexec_b64 s[18:19], vcc
	s_cbranch_execz .LBB0_7
; %bb.6:
	v_pk_add_f32 v[2:3], v[2:3], v[0:1]
	v_pk_mul_f32 v[180:181], v[36:37], s[40:41]
	v_pk_add_f32 v[2:3], v[32:33], v[2:3]
	v_mov_b32_e32 v90, v71
	v_pk_add_f32 v[2:3], v[34:35], v[2:3]
	v_pk_add_f32 v[70:71], v[162:163], v[180:181] neg_lo:[0,1] neg_hi:[0,1]
	v_pk_add_f32 v[2:3], v[28:29], v[2:3]
	v_mov_b32_e32 v71, v161
	v_pk_add_f32 v[2:3], v[30:31], v[2:3]
	v_mov_b32_e32 v145, v143
	;; [unrolled: 2-line block ×6, first 2 shown]
	v_pk_add_f32 v[4:5], v[4:5], v[182:183]
	v_pk_mul_f32 v[2:3], v[36:37], s[22:23]
	v_pk_add_f32 v[4:5], v[6:7], v[4:5]
	v_pk_add_f32 v[6:7], v[70:71], v[0:1]
	;; [unrolled: 1-line block ×6, first 2 shown]
	v_pk_mul_f32 v[20:21], v[36:37], s[42:43]
	v_pk_add_f32 v[6:7], v[154:155], v[6:7]
	v_pk_mul_f32 v[22:23], v[38:39], s[6:7]
	v_pk_add_f32 v[6:7], v[158:159], v[6:7]
	v_pk_add_f32 v[4:5], v[16:17], v[4:5]
	;; [unrolled: 1-line block ×3, first 2 shown]
	v_mov_b32_e32 v171, v169
	v_pk_add_f32 v[92:93], v[92:93], v[20:21] neg_lo:[0,1] neg_hi:[0,1]
	v_pk_mul_f32 v[20:21], v[38:39], s[0:1]
	v_pk_add_f32 v[94:95], v[94:95], v[22:23] neg_lo:[0,1] neg_hi:[0,1]
	v_pk_add_f32 v[68:69], v[68:69], v[2:3] neg_lo:[0,1] neg_hi:[0,1]
	v_pk_add_f32 v[4:5], v[18:19], v[4:5]
	v_pk_add_f32 v[6:7], v[170:171], v[6:7]
	v_mov_b32_e32 v175, v173
	v_mov_b32_e32 v93, v109
	;; [unrolled: 1-line block ×4, first 2 shown]
	v_pk_add_f32 v[64:65], v[74:75], v[20:21] neg_lo:[0,1] neg_hi:[0,1]
	v_add_lshl_u32 v91, v186, v118, 3
	v_pk_add_f32 v[4:5], v[58:59], v[4:5]
	v_pk_add_f32 v[6:7], v[174:175], v[6:7]
	v_mov_b32_e32 v65, v73
	ds_write2_b64 v91, v[4:5], v[6:7] offset1:1
	v_pk_add_f32 v[4:5], v[68:69], v[0:1]
	v_pk_add_f32 v[6:7], v[92:93], v[0:1]
	v_mov_b32_e32 v85, v123
	v_pk_add_f32 v[4:5], v[64:65], v[4:5]
	v_mov_b32_e32 v89, v87
	v_pk_add_f32 v[6:7], v[94:95], v[6:7]
	v_pk_add_f32 v[4:5], v[88:89], v[4:5]
	v_mov_b32_e32 v103, v101
	v_pk_add_f32 v[6:7], v[84:85], v[6:7]
	v_mov_b32_e32 v99, v97
	;; [unrolled: 2-line block ×10, first 2 shown]
	v_pk_mul_f32 v[20:21], v[40:41], s[44:45]
	v_pk_add_f32 v[4:5], v[138:139], v[4:5]
	v_pk_add_f32 v[6:7], v[134:135], v[6:7]
	s_mov_b32 s25, s12
	ds_write2_b64 v91, v[4:5], v[6:7] offset0:2 offset1:3
	v_pk_fma_f32 v[6:7], v[36:37], s[0:1], v[20:21] neg_lo:[1,0,0] neg_hi:[1,0,0]
	v_pk_fma_f32 v[4:5], v[36:37], s[0:1], v[20:21]
	s_mov_b32 s13, s24
	v_pk_mul_f32 v[2:3], v[42:43], s[24:25]
	v_mov_b32_e32 v7, v5
	v_pk_add_f32 v[8:9], v[6:7], v[0:1]
	v_pk_fma_f32 v[10:11], v[90:91], s[12:13], v[2:3] neg_lo:[1,0,0] neg_hi:[1,0,0]
	v_pk_fma_f32 v[6:7], v[38:39], s[12:13], v[2:3]
	s_mov_b32 s21, s28
	s_mov_b32 s17, s20
	v_mov_b32_e32 v11, v7
	v_pk_mul_f32 v[22:23], v[40:41], s[20:21]
	s_mov_b32 s21, s16
	v_pk_add_f32 v[16:17], v[10:11], v[8:9]
	v_pk_mul_f32 v[10:11], v[50:51], s[16:17] op_sel_hi:[1,0]
	v_mov_b32_e32 v82, v77
	v_pk_fma_f32 v[8:9], v[48:49], s[20:21], v[10:11] op_sel:[0,0,1] op_sel_hi:[1,0,0] neg_lo:[0,0,1] neg_hi:[0,0,1]
	v_pk_fma_f32 v[10:11], v[48:49], s[20:21], v[10:11] op_sel:[0,0,1] op_sel_hi:[1,0,0]
	v_mov_b32_e32 v83, v76
	s_mov_b32 s39, s41
	v_mov_b32_e32 v18, v8
	v_mov_b32_e32 v19, v11
	v_pk_add_f32 v[58:59], v[18:19], v[16:17]
	s_mov_b32 s52, s41
	v_pk_mul_f32 v[18:19], v[82:83], s[38:39] op_sel_hi:[1,0]
	v_mov_b32_e32 v80, v79
	v_pk_fma_f32 v[16:17], v[52:53], s[52:53], v[18:19] op_sel_hi:[1,0,1] neg_lo:[0,0,1] neg_hi:[0,0,1]
	v_pk_fma_f32 v[18:19], v[52:53], s[52:53], v[18:19] op_sel_hi:[1,0,1]
	v_mov_b32_e32 v81, v78
	v_mov_b32_e32 v64, v16
	;; [unrolled: 1-line block ×3, first 2 shown]
	v_pk_add_f32 v[68:69], v[64:65], v[58:59]
	s_mov_b32 s44, s43
	v_pk_mul_f32 v[64:65], v[80:81], s[42:43] op_sel_hi:[1,0]
	v_mov_b32_e32 v78, v141
	v_pk_fma_f32 v[58:59], v[54:55], s[44:45], v[64:65] op_sel_hi:[1,0,1] neg_lo:[0,0,1] neg_hi:[0,0,1]
	v_pk_fma_f32 v[64:65], v[54:55], s[44:45], v[64:65] op_sel_hi:[1,0,1]
	v_mov_b32_e32 v79, v140
	s_mov_b32 s31, s14
	s_mov_b32 s35, s30
	v_mov_b32_e32 v70, v58
	v_mov_b32_e32 v71, v65
	v_pk_mul_f32 v[24:25], v[42:43], s[30:31]
	s_mov_b32 s31, s34
	v_pk_add_f32 v[72:73], v[70:71], v[68:69]
	v_pk_mul_f32 v[70:71], v[78:79], s[34:35] op_sel_hi:[1,0]
	v_mov_b32_e32 v76, v153
	v_pk_fma_f32 v[68:69], v[56:57], s[30:31], v[70:71] op_sel_hi:[1,0,1] neg_lo:[0,0,1] neg_hi:[0,0,1]
	v_pk_fma_f32 v[70:71], v[56:57], s[30:31], v[70:71] op_sel_hi:[1,0,1]
	v_mov_b32_e32 v77, v152
	v_pk_mul_f32 v[26:27], v[40:41], s[46:47]
	s_mov_b32 s46, s43
	s_mov_b32 s47, s26
	v_mov_b32_e32 v74, v68
	v_mov_b32_e32 v75, v71
	s_mov_b32 s54, 0x3f4c4adb
	v_pk_mul_f32 v[32:33], v[42:43], s[46:47]
	v_pk_add_f32 v[84:85], v[74:75], v[72:73]
	s_mov_b32 s46, s7
	v_pk_mul_f32 v[74:75], v[76:77], s[54:55] op_sel_hi:[1,0]
	v_mov_b32_e32 v34, v177
	v_pk_fma_f32 v[72:73], v[60:61], s[46:47], v[74:75] op_sel_hi:[1,0,1] neg_lo:[0,0,1] neg_hi:[0,0,1]
	v_pk_fma_f32 v[74:75], v[60:61], s[46:47], v[74:75] op_sel_hi:[1,0,1]
	v_mov_b32_e32 v35, v176
	v_mov_b32_e32 v86, v72
	;; [unrolled: 1-line block ×3, first 2 shown]
	v_pk_add_f32 v[88:89], v[86:87], v[84:85]
	s_mov_b32 s50, s23
	v_pk_mul_f32 v[86:87], v[34:35], s[36:37] op_sel_hi:[1,0]
	s_mov_b32 s29, s20
	v_pk_fma_f32 v[84:85], v[62:63], s[50:51], v[86:87] op_sel_hi:[1,0,1] neg_lo:[0,0,1] neg_hi:[0,0,1]
	v_pk_fma_f32 v[86:87], v[62:63], s[50:51], v[86:87] op_sel_hi:[1,0,1]
	v_mov_b32_e32 v92, v84
	v_mov_b32_e32 v93, v87
	v_pk_add_f32 v[120:121], v[92:93], v[88:89]
	v_pk_fma_f32 v[92:93], v[36:37], s[28:29], v[22:23] neg_lo:[1,0,0] neg_hi:[1,0,0]
	v_pk_fma_f32 v[88:89], v[36:37], s[28:29], v[22:23]
	s_mov_b32 s15, s30
	v_mov_b32_e32 v93, v89
	v_pk_add_f32 v[94:95], v[92:93], v[0:1]
	v_pk_fma_f32 v[98:99], v[90:91], s[14:15], v[24:25] neg_lo:[1,0,0] neg_hi:[1,0,0]
	v_pk_fma_f32 v[92:93], v[38:39], s[14:15], v[24:25]
	v_pk_mul_f32 v[96:97], v[50:51], s[36:37] op_sel_hi:[1,0]
	v_mov_b32_e32 v99, v93
	v_pk_add_f32 v[98:99], v[98:99], v[94:95]
	v_pk_fma_f32 v[94:95], v[48:49], s[50:51], v[96:97] op_sel:[0,0,1] op_sel_hi:[1,0,0] neg_lo:[0,0,1] neg_hi:[0,0,1]
	v_pk_fma_f32 v[96:97], v[48:49], s[50:51], v[96:97] op_sel:[0,0,1] op_sel_hi:[1,0,0]
	v_pk_mul_f32 v[100:101], v[82:83], s[42:43] op_sel_hi:[1,0]
	v_mov_b32_e32 v102, v94
	v_mov_b32_e32 v103, v97
	v_pk_add_f32 v[102:103], v[102:103], v[98:99]
	v_pk_fma_f32 v[98:99], v[52:53], s[44:45], v[100:101] op_sel_hi:[1,0,1] neg_lo:[0,0,1] neg_hi:[0,0,1]
	v_pk_fma_f32 v[100:101], v[52:53], s[44:45], v[100:101] op_sel_hi:[1,0,1]
	v_pk_mul_f32 v[104:105], v[80:81], s[12:13] op_sel_hi:[1,0]
	v_mov_b32_e32 v106, v98
	v_mov_b32_e32 v107, v101
	s_mov_b32 s48, 0x3f7ee86f
	v_pk_add_f32 v[106:107], v[106:107], v[102:103]
	v_pk_fma_f32 v[102:103], v[54:55], s[24:25], v[104:105] op_sel_hi:[1,0,1] neg_lo:[0,0,1] neg_hi:[0,0,1]
	v_pk_fma_f32 v[104:105], v[54:55], s[24:25], v[104:105] op_sel_hi:[1,0,1]
	s_mov_b32 s42, s1
	v_pk_mul_f32 v[108:109], v[78:79], s[48:49] op_sel_hi:[1,0]
	v_mov_b32_e32 v110, v102
	v_mov_b32_e32 v111, v105
	v_pk_add_f32 v[110:111], v[110:111], v[106:107]
	v_pk_fma_f32 v[106:107], v[56:57], s[42:43], v[108:109] op_sel_hi:[1,0,1] neg_lo:[0,0,1] neg_hi:[0,0,1]
	v_pk_fma_f32 v[108:109], v[56:57], s[42:43], v[108:109] op_sel_hi:[1,0,1]
	v_pk_mul_f32 v[112:113], v[76:77], s[40:41] op_sel_hi:[1,0]
	v_mov_b32_e32 v114, v106
	v_mov_b32_e32 v115, v109
	v_pk_add_f32 v[114:115], v[114:115], v[110:111]
	v_pk_fma_f32 v[110:111], v[60:61], s[52:53], v[112:113] op_sel_hi:[1,0,1] neg_lo:[0,0,1] neg_hi:[0,0,1]
	v_pk_fma_f32 v[112:113], v[60:61], s[52:53], v[112:113] op_sel_hi:[1,0,1]
	v_pk_mul_f32 v[116:117], v[34:35], s[6:7] op_sel_hi:[1,0]
	v_mov_b32_e32 v122, v110
	v_mov_b32_e32 v123, v113
	v_pk_add_f32 v[122:123], v[122:123], v[114:115]
	v_pk_fma_f32 v[114:115], v[62:63], s[46:47], v[116:117] op_sel_hi:[1,0,1] neg_lo:[0,0,1] neg_hi:[0,0,1]
	v_pk_fma_f32 v[116:117], v[62:63], s[46:47], v[116:117] op_sel_hi:[1,0,1]
	v_pk_mul_f32 v[28:29], v[42:43], s[20:21]
	v_mov_b32_e32 v124, v114
	v_mov_b32_e32 v125, v117
	v_pk_fma_f32 v[132:133], v[36:37], s[6:7], v[26:27] neg_lo:[1,0,0] neg_hi:[1,0,0]
	v_pk_fma_f32 v[134:135], v[36:37], s[6:7], v[26:27]
	v_pk_add_f32 v[122:123], v[124:125], v[122:123]
	v_mov_b32_e32 v133, v135
	v_pk_fma_f32 v[136:137], v[90:91], s[16:17], v[28:29] neg_lo:[1,0,0] neg_hi:[1,0,0]
	v_pk_fma_f32 v[138:139], v[38:39], s[16:17], v[28:29]
	ds_write2_b64 v91, v[120:121], v[122:123] offset0:4 offset1:5
	v_pk_mul_f32 v[120:121], v[50:51], s[40:41] op_sel_hi:[1,0]
	v_pk_add_f32 v[132:133], v[132:133], v[0:1]
	v_mov_b32_e32 v137, v139
	v_pk_add_f32 v[132:133], v[136:137], v[132:133]
	v_pk_fma_f32 v[136:137], v[48:49], s[52:53], v[120:121] op_sel:[0,0,1] op_sel_hi:[1,0,0] neg_lo:[0,0,1] neg_hi:[0,0,1]
	v_pk_fma_f32 v[120:121], v[48:49], s[52:53], v[120:121] op_sel:[0,0,1] op_sel_hi:[1,0,0]
	v_pk_mul_f32 v[122:123], v[82:83], s[34:35] op_sel_hi:[1,0]
	v_mov_b32_e32 v140, v136
	v_mov_b32_e32 v141, v121
	v_pk_add_f32 v[132:133], v[140:141], v[132:133]
	v_pk_fma_f32 v[140:141], v[52:53], s[30:31], v[122:123] op_sel_hi:[1,0,1] neg_lo:[0,0,1] neg_hi:[0,0,1]
	v_pk_fma_f32 v[122:123], v[52:53], s[30:31], v[122:123] op_sel_hi:[1,0,1]
	v_pk_mul_f32 v[124:125], v[80:81], s[48:49] op_sel_hi:[1,0]
	v_mov_b32_e32 v142, v140
	v_mov_b32_e32 v143, v123
	v_pk_add_f32 v[132:133], v[142:143], v[132:133]
	v_pk_fma_f32 v[142:143], v[54:55], s[42:43], v[124:125] op_sel_hi:[1,0,1] neg_lo:[0,0,1] neg_hi:[0,0,1]
	v_pk_fma_f32 v[124:125], v[54:55], s[42:43], v[124:125] op_sel_hi:[1,0,1]
	;; [unrolled: 6-line block ×3, first 2 shown]
	v_pk_mul_f32 v[128:129], v[76:77], s[12:13] op_sel_hi:[1,0]
	v_mov_b32_e32 v146, v144
	v_mov_b32_e32 v147, v127
	s_mov_b32 s27, s43
	v_pk_add_f32 v[132:133], v[146:147], v[132:133]
	v_pk_fma_f32 v[146:147], v[60:61], s[24:25], v[128:129] op_sel_hi:[1,0,1] neg_lo:[0,0,1] neg_hi:[0,0,1]
	v_pk_fma_f32 v[128:129], v[60:61], s[24:25], v[128:129] op_sel_hi:[1,0,1]
	v_pk_mul_f32 v[30:31], v[40:41], s[30:31]
	v_pk_mul_f32 v[130:131], v[34:35], s[26:27] op_sel_hi:[1,0]
	v_mov_b32_e32 v148, v146
	v_mov_b32_e32 v149, v129
	v_pk_add_f32 v[132:133], v[148:149], v[132:133]
	v_pk_fma_f32 v[148:149], v[62:63], s[44:45], v[130:131] op_sel_hi:[1,0,1] neg_lo:[0,0,1] neg_hi:[0,0,1]
	v_pk_fma_f32 v[130:131], v[62:63], s[44:45], v[130:131] op_sel_hi:[1,0,1]
	v_pk_fma_f32 v[154:155], v[36:37], s[34:35], v[30:31] neg_lo:[1,0,0] neg_hi:[1,0,0]
	v_pk_fma_f32 v[156:157], v[36:37], s[34:35], v[30:31]
	v_mov_b32_e32 v150, v148
	v_mov_b32_e32 v151, v131
	;; [unrolled: 1-line block ×3, first 2 shown]
	v_pk_fma_f32 v[158:159], v[90:91], s[26:27], v[32:33] neg_lo:[1,0,0] neg_hi:[1,0,0]
	v_pk_fma_f32 v[160:161], v[38:39], s[26:27], v[32:33]
	v_pk_add_f32 v[132:133], v[150:151], v[132:133]
	v_pk_mul_f32 v[150:151], v[50:51], s[0:1] op_sel_hi:[1,0]
	v_pk_add_f32 v[154:155], v[154:155], v[0:1]
	v_mov_b32_e32 v159, v161
	v_pk_add_f32 v[154:155], v[158:159], v[154:155]
	v_pk_fma_f32 v[158:159], v[48:49], s[42:43], v[150:151] op_sel:[0,0,1] op_sel_hi:[1,0,0] neg_lo:[0,0,1] neg_hi:[0,0,1]
	v_pk_fma_f32 v[150:151], v[48:49], s[42:43], v[150:151] op_sel:[0,0,1] op_sel_hi:[1,0,0]
	v_pk_mul_f32 v[152:153], v[82:83], s[54:55] op_sel_hi:[1,0]
	v_mov_b32_e32 v162, v158
	v_mov_b32_e32 v163, v151
	v_pk_add_f32 v[154:155], v[162:163], v[154:155]
	v_pk_fma_f32 v[162:163], v[52:53], s[46:47], v[152:153] op_sel_hi:[1,0,1] neg_lo:[0,0,1] neg_hi:[0,0,1]
	v_pk_fma_f32 v[152:153], v[52:53], s[46:47], v[152:153] op_sel_hi:[1,0,1]
	v_mov_b32_e32 v164, v162
	v_mov_b32_e32 v165, v153
	v_pk_add_f32 v[154:155], v[164:165], v[154:155]
	v_pk_mul_f32 v[164:165], v[80:81], s[40:41] op_sel_hi:[1,0]
	v_pk_mul_f32 v[40:41], v[40:41], s[24:25]
	v_pk_fma_f32 v[166:167], v[54:55], s[52:53], v[164:165] op_sel_hi:[1,0,1] neg_lo:[0,0,1] neg_hi:[0,0,1]
	v_pk_fma_f32 v[164:165], v[54:55], s[52:53], v[164:165] op_sel_hi:[1,0,1]
	v_mov_b32_e32 v168, v166
	v_mov_b32_e32 v169, v165
	v_pk_add_f32 v[154:155], v[168:169], v[154:155]
	v_pk_mul_f32 v[168:169], v[78:79], s[12:13] op_sel_hi:[1,0]
	s_mov_b32 s22, s41
	v_pk_fma_f32 v[170:171], v[56:57], s[24:25], v[168:169] op_sel_hi:[1,0,1] neg_lo:[0,0,1] neg_hi:[0,0,1]
	v_pk_fma_f32 v[168:169], v[56:57], s[24:25], v[168:169] op_sel_hi:[1,0,1]
	v_mov_b32_e32 v172, v170
	v_mov_b32_e32 v173, v169
	v_pk_add_f32 v[154:155], v[172:173], v[154:155]
	v_pk_mul_f32 v[172:173], v[76:77], s[36:37] op_sel_hi:[1,0]
	s_mov_b32 s23, s38
	v_pk_fma_f32 v[174:175], v[60:61], s[50:51], v[172:173] op_sel_hi:[1,0,1] neg_lo:[0,0,1] neg_hi:[0,0,1]
	v_pk_fma_f32 v[172:173], v[60:61], s[50:51], v[172:173] op_sel_hi:[1,0,1]
	v_mov_b32_e32 v176, v174
	v_mov_b32_e32 v177, v173
	v_pk_add_f32 v[154:155], v[176:177], v[154:155]
	v_pk_mul_f32 v[176:177], v[34:35], s[28:29] op_sel_hi:[1,0]
	v_pk_mul_f32 v[42:43], v[42:43], s[22:23]
	v_pk_fma_f32 v[180:181], v[62:63], s[20:21], v[176:177] op_sel_hi:[1,0,1] neg_lo:[0,0,1] neg_hi:[0,0,1]
	v_pk_fma_f32 v[176:177], v[62:63], s[20:21], v[176:177] op_sel_hi:[1,0,1]
	v_mov_b32_e32 v182, v180
	v_mov_b32_e32 v183, v177
	v_pk_add_f32 v[154:155], v[182:183], v[154:155]
	ds_write2_b64 v91, v[132:133], v[154:155] offset0:6 offset1:7
	v_pk_fma_f32 v[132:133], v[36:37], s[12:13], v[40:41] neg_lo:[1,0,0] neg_hi:[1,0,0]
	v_pk_fma_f32 v[154:155], v[36:37], s[12:13], v[40:41]
	v_pk_fma_f32 v[182:183], v[90:91], s[38:39], v[42:43] neg_lo:[1,0,0] neg_hi:[1,0,0]
	v_mov_b32_e32 v133, v155
	v_pk_fma_f32 v[184:185], v[38:39], s[38:39], v[42:43]
	v_pk_add_f32 v[132:133], v[132:133], v[0:1]
	v_mov_b32_e32 v183, v185
	v_pk_mul_f32 v[50:51], v[50:51], s[34:35] op_sel_hi:[1,0]
	v_pk_add_f32 v[132:133], v[182:183], v[132:133]
	v_pk_fma_f32 v[182:183], v[48:49], s[30:31], v[50:51] op_sel:[0,0,1] op_sel_hi:[1,0,0] neg_lo:[0,0,1] neg_hi:[0,0,1]
	v_pk_fma_f32 v[48:49], v[48:49], s[30:31], v[50:51] op_sel:[0,0,1] op_sel_hi:[1,0,0]
	v_mov_b32_e32 v50, v182
	v_mov_b32_e32 v51, v49
	v_pk_mul_f32 v[82:83], v[82:83], s[36:37] op_sel_hi:[1,0]
	v_pk_add_f32 v[50:51], v[50:51], v[132:133]
	v_pk_fma_f32 v[132:133], v[52:53], s[50:51], v[82:83] op_sel_hi:[1,0,1] neg_lo:[0,0,1] neg_hi:[0,0,1]
	v_pk_fma_f32 v[52:53], v[52:53], s[50:51], v[82:83] op_sel_hi:[1,0,1]
	v_mov_b32_e32 v82, v132
	v_mov_b32_e32 v83, v53
	v_pk_mul_f32 v[80:81], v[80:81], s[6:7] op_sel_hi:[1,0]
	v_pk_fma_f32 v[40:41], v[36:37], s[12:13], v[40:41] neg_lo:[0,0,1] neg_hi:[0,0,1]
	v_pk_fma_f32 v[30:31], v[36:37], s[34:35], v[30:31] neg_lo:[0,0,1] neg_hi:[0,0,1]
	;; [unrolled: 1-line block ×5, first 2 shown]
	v_pk_add_f32 v[50:51], v[82:83], v[50:51]
	v_pk_fma_f32 v[82:83], v[54:55], s[46:47], v[80:81] op_sel_hi:[1,0,1] neg_lo:[0,0,1] neg_hi:[0,0,1]
	v_pk_fma_f32 v[54:55], v[54:55], s[46:47], v[80:81] op_sel_hi:[1,0,1]
	v_mov_b32_e32 v155, v41
	v_pk_fma_f32 v[40:41], v[38:39], s[38:39], v[42:43] neg_lo:[0,0,1] neg_hi:[0,0,1]
	v_mov_b32_e32 v157, v31
	v_pk_fma_f32 v[32:33], v[38:39], s[26:27], v[32:33] neg_lo:[0,0,1] neg_hi:[0,0,1]
	v_mov_b32_e32 v135, v27
	v_pk_fma_f32 v[28:29], v[38:39], s[16:17], v[28:29] neg_lo:[0,0,1] neg_hi:[0,0,1]
	v_mov_b32_e32 v89, v23
	v_pk_fma_f32 v[24:25], v[38:39], s[14:15], v[24:25] neg_lo:[0,0,1] neg_hi:[0,0,1]
	v_mov_b32_e32 v5, v21
	v_pk_fma_f32 v[2:3], v[38:39], s[12:13], v[2:3] neg_lo:[0,0,1] neg_hi:[0,0,1]
	v_mov_b32_e32 v80, v82
	v_mov_b32_e32 v81, v55
	v_pk_mul_f32 v[78:79], v[78:79], s[26:27] op_sel_hi:[1,0]
	v_mov_b32_e32 v185, v41
	v_pk_add_f32 v[40:41], v[154:155], v[0:1]
	v_pk_add_f32 v[30:31], v[156:157], v[0:1]
	v_mov_b32_e32 v161, v33
	v_pk_add_f32 v[26:27], v[134:135], v[0:1]
	v_mov_b32_e32 v139, v29
	;; [unrolled: 2-line block ×4, first 2 shown]
	v_pk_add_f32 v[50:51], v[80:81], v[50:51]
	v_pk_fma_f32 v[80:81], v[56:57], s[44:45], v[78:79] op_sel_hi:[1,0,1] neg_lo:[0,0,1] neg_hi:[0,0,1]
	v_pk_fma_f32 v[56:57], v[56:57], s[44:45], v[78:79] op_sel_hi:[1,0,1]
	v_pk_add_f32 v[40:41], v[184:185], v[40:41]
	v_mov_b32_e32 v49, v183
	v_pk_add_f32 v[30:31], v[160:161], v[30:31]
	v_mov_b32_e32 v151, v159
	;; [unrolled: 2-line block ×5, first 2 shown]
	v_mov_b32_e32 v78, v80
	v_mov_b32_e32 v79, v57
	v_pk_mul_f32 v[76:77], v[76:77], s[28:29] op_sel_hi:[1,0]
	v_pk_add_f32 v[40:41], v[48:49], v[40:41]
	v_mov_b32_e32 v53, v133
	v_pk_add_f32 v[30:31], v[150:151], v[30:31]
	v_mov_b32_e32 v153, v163
	;; [unrolled: 2-line block ×5, first 2 shown]
	v_pk_add_f32 v[50:51], v[78:79], v[50:51]
	v_pk_fma_f32 v[78:79], v[60:61], s[20:21], v[76:77] op_sel_hi:[1,0,1] neg_lo:[0,0,1] neg_hi:[0,0,1]
	v_pk_fma_f32 v[60:61], v[60:61], s[20:21], v[76:77] op_sel_hi:[1,0,1]
	v_pk_add_f32 v[40:41], v[52:53], v[40:41]
	v_mov_b32_e32 v55, v83
	v_pk_add_f32 v[30:31], v[152:153], v[30:31]
	v_mov_b32_e32 v165, v167
	;; [unrolled: 2-line block ×5, first 2 shown]
	v_mov_b32_e32 v76, v78
	v_mov_b32_e32 v77, v61
	v_pk_mul_f32 v[34:35], v[34:35], s[48:49] op_sel_hi:[1,0]
	v_pk_add_f32 v[40:41], v[54:55], v[40:41]
	v_mov_b32_e32 v57, v81
	v_pk_add_f32 v[30:31], v[164:165], v[30:31]
	v_mov_b32_e32 v169, v171
	;; [unrolled: 2-line block ×5, first 2 shown]
	v_pk_add_f32 v[50:51], v[76:77], v[50:51]
	v_pk_fma_f32 v[76:77], v[62:63], s[42:43], v[34:35] op_sel_hi:[1,0,1] neg_lo:[0,0,1] neg_hi:[0,0,1]
	v_pk_fma_f32 v[34:35], v[62:63], s[42:43], v[34:35] op_sel_hi:[1,0,1]
	v_pk_add_f32 v[40:41], v[56:57], v[40:41]
	v_mov_b32_e32 v61, v79
	v_pk_add_f32 v[30:31], v[168:169], v[30:31]
	v_mov_b32_e32 v173, v175
	;; [unrolled: 2-line block ×5, first 2 shown]
	v_mov_b32_e32 v62, v76
	v_mov_b32_e32 v63, v35
	v_pk_add_f32 v[40:41], v[60:61], v[40:41]
	v_mov_b32_e32 v35, v77
	v_pk_add_f32 v[30:31], v[172:173], v[30:31]
	;; [unrolled: 2-line block ×6, first 2 shown]
	v_pk_add_f32 v[34:35], v[34:35], v[40:41]
	v_pk_add_f32 v[30:31], v[176:177], v[30:31]
	;; [unrolled: 1-line block ×5, first 2 shown]
	ds_write2_b64 v91, v[50:51], v[34:35] offset0:8 offset1:9
	ds_write2_b64 v91, v[30:31], v[26:27] offset0:10 offset1:11
	;; [unrolled: 1-line block ×4, first 2 shown]
	ds_write_b64 v91, v[66:67] offset:128
.LBB0_7:
	s_or_b64 exec, exec, s[18:19]
	s_movk_i32 s0, 0xf1
	v_add_u16_e32 v1, 0xaa, v44
	v_mul_lo_u16_sdwa v2, v1, s0 dst_sel:DWORD dst_unused:UNUSED_PAD src0_sel:BYTE_0 src1_sel:DWORD
	v_lshrrev_b16_e32 v18, 12, v2
	v_mul_lo_u16_e32 v2, 17, v18
	v_sub_u16_e32 v19, v1, v2
	v_add_u16_e32 v2, 0xcc, v44
	v_mul_lo_u16_sdwa v3, v2, s0 dst_sel:DWORD dst_unused:UNUSED_PAD src0_sel:BYTE_0 src1_sel:DWORD
	v_lshrrev_b16_e32 v20, 12, v3
	v_mul_lo_u16_e32 v3, 17, v20
	v_mov_b32_e32 v0, 3
	v_sub_u16_e32 v21, v2, v3
	v_lshlrev_b32_sdwa v2, v0, v21 dst_sel:DWORD dst_unused:UNUSED_PAD src0_sel:DWORD src1_sel:BYTE_0
	s_load_dwordx4 s[4:7], s[4:5], 0x0
	s_waitcnt lgkmcnt(0)
	s_barrier
	v_lshlrev_b32_sdwa v1, v0, v19 dst_sel:DWORD dst_unused:UNUSED_PAD src0_sel:DWORD src1_sel:BYTE_0
	global_load_dwordx2 v[64:65], v2, s[10:11]
	global_load_dwordx2 v[60:61], v1, s[10:11]
	v_add_u16_e32 v1, 0x88, v44
	v_mul_lo_u16_sdwa v2, v1, s0 dst_sel:DWORD dst_unused:UNUSED_PAD src0_sel:BYTE_0 src1_sel:DWORD
	v_lshrrev_b16_e32 v22, 12, v2
	v_mul_lo_u16_e32 v2, 17, v22
	v_sub_u16_e32 v23, v1, v2
	v_lshlrev_b32_sdwa v1, v0, v23 dst_sel:DWORD dst_unused:UNUSED_PAD src0_sel:DWORD src1_sel:BYTE_0
	global_load_dwordx2 v[56:57], v1, s[10:11]
	v_add_u16_e32 v3, 0x66, v44
	v_mul_lo_u16_sdwa v4, v3, s0 dst_sel:DWORD dst_unused:UNUSED_PAD src0_sel:BYTE_0 src1_sel:DWORD
	v_lshrrev_b16_e32 v25, 12, v4
	v_add_u16_e32 v1, 0x44, v44
	v_mul_lo_u16_e32 v4, 17, v25
	v_mul_lo_u16_sdwa v2, v1, s0 dst_sel:DWORD dst_unused:UNUSED_PAD src0_sel:BYTE_0 src1_sel:DWORD
	v_sub_u16_e32 v26, v3, v4
	v_lshlrev_b32_sdwa v3, v0, v26 dst_sel:DWORD dst_unused:UNUSED_PAD src0_sel:DWORD src1_sel:BYTE_0
	v_lshrrev_b16_e32 v27, 12, v2
	global_load_dwordx2 v[58:59], v3, s[10:11]
	v_mul_lo_u16_e32 v2, 17, v27
	v_sub_u16_e32 v28, v1, v2
	v_lshlrev_b32_sdwa v1, v0, v28 dst_sel:DWORD dst_unused:UNUSED_PAD src0_sel:DWORD src1_sel:BYTE_0
	global_load_dwordx2 v[54:55], v1, s[10:11]
	v_add_u16_e32 v1, 34, v44
	v_mul_lo_u16_sdwa v2, v1, s0 dst_sel:DWORD dst_unused:UNUSED_PAD src0_sel:BYTE_0 src1_sel:DWORD
	v_lshrrev_b16_e32 v29, 12, v2
	v_mul_lo_u16_e32 v2, 17, v29
	v_sub_u16_e32 v30, v1, v2
	s_movk_i32 s0, 0xffef
	v_lshlrev_b32_sdwa v0, v0, v30 dst_sel:DWORD dst_unused:UNUSED_PAD src0_sel:DWORD src1_sel:BYTE_0
	global_load_dwordx2 v[52:53], v0, s[10:11]
	s_mov_b32 s1, -1
	v_lshl_add_u64 v[0:1], v[44:45], 0, s[0:1]
	v_cmp_gt_u16_e64 s[0:1], 17, v44
	v_add_lshl_u32 v45, v186, v44, 3
	v_add_u32_e32 v24, 0x800, v45
	v_cndmask_b32_e64 v17, v1, 0, s[0:1]
	v_cndmask_b32_e64 v16, v0, v44, s[0:1]
	v_lshl_add_u64 v[0:1], v[16:17], 3, s[10:11]
	global_load_dwordx2 v[50:51], v[0:1], off
	v_cmp_lt_u16_e64 s[0:1], 16, v44
	ds_read2_b64 v[0:3], v45 offset0:204 offset1:238
	ds_read2_b64 v[4:7], v45 offset0:136 offset1:170
	ds_read2_b64 v[8:11], v24 offset0:152 offset1:186
	v_cndmask_b32_e64 v17, 0, 34, s[0:1]
	v_add_u32_e32 v16, v16, v17
	v_mul_u32_u24_e32 v17, 34, v27
	v_add_lshl_u32 v158, v186, v16, 3
	v_mad_legacy_u16 v16, v29, 34, v30
	v_mul_u32_u24_e32 v18, 34, v18
	v_mul_u32_u24_e32 v20, 34, v20
	v_add_u32_sdwa v17, v17, v28 dst_sel:DWORD dst_unused:UNUSED_PAD src0_sel:DWORD src1_sel:BYTE_0
	v_and_b32_e32 v16, 0xff, v16
	v_add_u32_sdwa v18, v18, v19 dst_sel:DWORD dst_unused:UNUSED_PAD src0_sel:DWORD src1_sel:BYTE_0
	v_add_u32_sdwa v19, v20, v21 dst_sel:DWORD dst_unused:UNUSED_PAD src0_sel:DWORD src1_sel:BYTE_0
	v_add_lshl_u32 v159, v186, v17, 3
	v_add_lshl_u32 v164, v186, v16, 3
	;; [unrolled: 1-line block ×4, first 2 shown]
	v_mul_u32_u24_e32 v25, 34, v25
	v_mul_u32_u24_e32 v22, 34, v22
	v_add_u32_sdwa v25, v25, v26 dst_sel:DWORD dst_unused:UNUSED_PAD src0_sel:DWORD src1_sel:BYTE_0
	v_add_u32_sdwa v22, v22, v23 dst_sel:DWORD dst_unused:UNUSED_PAD src0_sel:DWORD src1_sel:BYTE_0
	v_add_lshl_u32 v161, v186, v22, 3
	v_add_lshl_u32 v160, v186, v25, 3
	s_mov_b32 s16, 0x3eae86e6
	s_mov_b32 s12, 0x3d64c772
	;; [unrolled: 1-line block ×8, first 2 shown]
	v_lshlrev_b32_e32 v165, 3, v44
	s_waitcnt vmcnt(6) lgkmcnt(0)
	v_pk_mul_f32 v[16:17], v[10:11], v[64:65] op_sel:[0,1]
	s_nop 0
	v_pk_fma_f32 v[18:19], v[10:11], v[64:65], v[16:17] op_sel:[0,0,1] op_sel_hi:[1,1,0] neg_lo:[0,0,1] neg_hi:[0,0,1]
	v_pk_fma_f32 v[10:11], v[10:11], v[64:65], v[16:17] op_sel:[0,0,1] op_sel_hi:[1,0,0]
	s_waitcnt vmcnt(5)
	v_pk_mul_f32 v[20:21], v[8:9], v[60:61] op_sel:[0,1]
	v_mov_b32_e32 v19, v11
	v_pk_add_f32 v[26:27], v[0:1], v[18:19] neg_lo:[0,1] neg_hi:[0,1]
	ds_read2_b64 v[16:19], v24 offset0:84 offset1:118
	v_pk_fma_f32 v[22:23], v[8:9], v[60:61], v[20:21] op_sel:[0,0,1] op_sel_hi:[1,1,0] neg_lo:[0,0,1] neg_hi:[0,0,1]
	v_pk_fma_f32 v[8:9], v[8:9], v[60:61], v[20:21] op_sel:[0,0,1] op_sel_hi:[1,0,0]
	v_pk_fma_f32 v[0:1], v[0:1], 2.0, v[26:27] op_sel_hi:[1,0,1] neg_lo:[0,0,1] neg_hi:[0,0,1]
	v_mov_b32_e32 v23, v9
	v_pk_add_f32 v[20:21], v[6:7], v[22:23] neg_lo:[0,1] neg_hi:[0,1]
	s_waitcnt vmcnt(3) lgkmcnt(0)
	v_pk_mul_f32 v[30:31], v[16:17], v[58:59] op_sel:[0,1]
	v_pk_fma_f32 v[22:23], v[6:7], 2.0, v[20:21] op_sel_hi:[1,0,1] neg_lo:[0,0,1] neg_hi:[0,0,1]
	v_pk_mul_f32 v[6:7], v[18:19], v[56:57] op_sel:[0,1]
	v_pk_fma_f32 v[32:33], v[16:17], v[58:59], v[30:31] op_sel:[0,0,1] op_sel_hi:[1,1,0] neg_lo:[0,0,1] neg_hi:[0,0,1]
	v_pk_fma_f32 v[8:9], v[18:19], v[56:57], v[6:7] op_sel:[0,0,1] op_sel_hi:[1,1,0] neg_lo:[0,0,1] neg_hi:[0,0,1]
	v_pk_fma_f32 v[6:7], v[18:19], v[56:57], v[6:7] op_sel:[0,0,1] op_sel_hi:[1,0,0]
	v_pk_fma_f32 v[16:17], v[16:17], v[58:59], v[30:31] op_sel:[0,0,1] op_sel_hi:[1,0,0]
	v_mov_b32_e32 v9, v7
	v_pk_add_f32 v[18:19], v[4:5], v[8:9] neg_lo:[0,1] neg_hi:[0,1]
	ds_read2_b64 v[8:11], v24 offset0:16 offset1:50
	v_pk_fma_f32 v[28:29], v[4:5], 2.0, v[18:19] op_sel_hi:[1,0,1] neg_lo:[0,0,1] neg_hi:[0,0,1]
	ds_read2_b64 v[4:7], v45 offset0:68 offset1:102
	v_mov_b32_e32 v33, v17
	s_waitcnt vmcnt(1) lgkmcnt(1)
	v_pk_mul_f32 v[34:35], v[8:9], v[52:53] op_sel:[0,1]
	s_nop 0
	v_pk_fma_f32 v[36:37], v[8:9], v[52:53], v[34:35] op_sel:[0,0,1] op_sel_hi:[1,1,0] neg_lo:[0,0,1] neg_hi:[0,0,1]
	s_waitcnt lgkmcnt(0)
	v_pk_add_f32 v[16:17], v[6:7], v[32:33] neg_lo:[0,1] neg_hi:[0,1]
	v_pk_fma_f32 v[8:9], v[8:9], v[52:53], v[34:35] op_sel:[0,0,1] op_sel_hi:[1,0,0]
	v_pk_fma_f32 v[30:31], v[6:7], 2.0, v[16:17] op_sel_hi:[1,0,1] neg_lo:[0,0,1] neg_hi:[0,0,1]
	v_pk_mul_f32 v[6:7], v[10:11], v[54:55] op_sel:[0,1]
	v_mov_b32_e32 v37, v9
	v_pk_fma_f32 v[32:33], v[10:11], v[54:55], v[6:7] op_sel:[0,0,1] op_sel_hi:[1,1,0] neg_lo:[0,0,1] neg_hi:[0,0,1]
	v_pk_fma_f32 v[6:7], v[10:11], v[54:55], v[6:7] op_sel:[0,0,1] op_sel_hi:[1,0,0]
	s_waitcnt vmcnt(0)
	v_pk_mul_f32 v[34:35], v[2:3], v[50:51] op_sel:[0,1]
	v_mov_b32_e32 v33, v7
	v_pk_add_f32 v[10:11], v[4:5], v[32:33] neg_lo:[0,1] neg_hi:[0,1]
	s_nop 0
	v_pk_fma_f32 v[32:33], v[4:5], 2.0, v[10:11] op_sel_hi:[1,0,1] neg_lo:[0,0,1] neg_hi:[0,0,1]
	ds_read2_b64 v[4:7], v45 offset1:34
	s_waitcnt lgkmcnt(0)
	s_barrier
	v_pk_add_f32 v[8:9], v[6:7], v[36:37] neg_lo:[0,1] neg_hi:[0,1]
	v_pk_fma_f32 v[36:37], v[2:3], v[50:51], v[34:35] op_sel:[0,0,1] op_sel_hi:[1,1,0] neg_lo:[0,0,1] neg_hi:[0,0,1]
	v_pk_fma_f32 v[2:3], v[2:3], v[50:51], v[34:35] op_sel:[0,0,1] op_sel_hi:[1,0,0]
	v_pk_fma_f32 v[6:7], v[6:7], 2.0, v[8:9] op_sel_hi:[1,0,1] neg_lo:[0,0,1] neg_hi:[0,0,1]
	v_mov_b32_e32 v37, v3
	v_pk_add_f32 v[2:3], v[4:5], v[36:37] neg_lo:[0,1] neg_hi:[0,1]
	s_nop 0
	v_pk_fma_f32 v[4:5], v[4:5], 2.0, v[2:3] op_sel_hi:[1,0,1] neg_lo:[0,0,1] neg_hi:[0,0,1]
	ds_write2_b64 v158, v[4:5], v[2:3] offset1:17
	ds_write2_b64 v164, v[6:7], v[8:9] offset1:17
	ds_write2_b64 v159, v[32:33], v[10:11] offset1:17
	ds_write2_b64 v160, v[30:31], v[16:17] offset1:17
	ds_write2_b64 v161, v[28:29], v[18:19] offset1:17
	ds_write2_b64 v162, v[22:23], v[20:21] offset1:17
	ds_write2_b64 v163, v[0:1], v[26:27] offset1:17
	v_mad_u64_u32 v[16:17], s[0:1], v44, 48, s[10:11]
	s_waitcnt lgkmcnt(0)
	s_barrier
	global_load_dwordx4 v[0:3], v[16:17], off offset:152
	global_load_dwordx4 v[8:11], v[16:17], off offset:136
	;; [unrolled: 1-line block ×3, first 2 shown]
	ds_read2_b64 v[26:29], v45 offset0:136 offset1:170
	ds_read2_b64 v[30:33], v45 offset0:204 offset1:238
	;; [unrolled: 1-line block ×6, first 2 shown]
	ds_read2_b64 v[76:79], v45 offset1:34
	s_waitcnt lgkmcnt(6)
	v_mov_b32_e32 v23, v29
	s_waitcnt lgkmcnt(5)
	v_mov_b32_e32 v94, v33
	v_mov_b32_e32 v95, v28
	v_mov_b32_e32 v22, v32
	s_waitcnt lgkmcnt(4)
	v_mov_b32_e32 v96, v37
	s_waitcnt lgkmcnt(3)
	v_mov_b32_e32 v97, v40
	s_mov_b32 s10, 0x3f955555
	s_mov_b32 s0, 0x3ee1c552
	s_waitcnt lgkmcnt(0)
	s_barrier
	s_waitcnt vmcnt(2)
	v_mov_b32_e32 v62, v0
	s_waitcnt vmcnt(1)
	v_mul_f32_e32 v20, v29, v11
	v_fma_f32 v91, v28, v10, -v20
	v_mov_b32_e32 v28, v1
	v_mov_b32_e32 v29, v11
	;; [unrolled: 1-line block ×3, first 2 shown]
	v_pk_mul_f32 v[28:29], v[94:95], v[28:29]
	v_mov_b32_e32 v49, v0
	v_mul_f32_e32 v43, v31, v0
	v_pk_fma_f32 v[94:95], v[32:33], v[0:1], v[28:29] neg_lo:[0,0,1] neg_hi:[0,0,1]
	v_pk_fma_f32 v[22:23], v[22:23], v[62:63], v[28:29]
	v_mov_b32_e32 v62, v71
	v_mov_b32_e32 v63, v32
	v_mov_b32_e32 v0, v9
	v_mul_f32_e32 v86, v70, v9
	s_waitcnt vmcnt(0)
	v_mul_f32_e32 v21, v41, v5
	v_mov_b32_e32 v28, v70
	v_mov_b32_e32 v29, v33
	;; [unrolled: 1-line block ×3, first 2 shown]
	v_pk_mul_f32 v[32:33], v[62:63], v[0:1]
	v_fmac_f32_e32 v86, v71, v8
	v_fma_f32 v93, v40, v4, -v21
	v_pk_fma_f32 v[70:71], v[28:29], v[48:49], v[32:33] neg_lo:[0,0,1] neg_hi:[0,0,1]
	v_pk_fma_f32 v[28:29], v[28:29], v[48:49], v[32:33]
	v_mov_b32_e32 v33, v41
	v_mov_b32_e32 v40, v3
	;; [unrolled: 1-line block ×3, first 2 shown]
	v_mul_f32_e32 v88, v74, v7
	v_mov_b32_e32 v32, v36
	v_mov_b32_e32 v62, v2
	;; [unrolled: 1-line block ×3, first 2 shown]
	v_pk_mul_f32 v[40:41], v[96:97], v[40:41]
	v_fmac_f32_e32 v88, v75, v6
	v_pk_fma_f32 v[96:97], v[36:37], v[2:3], v[40:41] neg_lo:[0,0,1] neg_hi:[0,0,1]
	v_pk_fma_f32 v[32:33], v[32:33], v[62:63], v[40:41]
	v_mov_b32_e32 v40, v74
	v_mov_b32_e32 v41, v37
	;; [unrolled: 1-line block ×8, first 2 shown]
	v_pk_mul_f32 v[36:37], v[74:75], v[36:37]
	v_pk_mul_f32 v[98:99], v[68:69], v[8:9] op_sel_hi:[1,0]
	v_pk_fma_f32 v[74:75], v[40:41], v[156:157], v[36:37] neg_lo:[0,0,1] neg_hi:[0,0,1]
	v_pk_fma_f32 v[36:37], v[40:41], v[156:157], v[36:37]
	v_mul_f32_e32 v83, v35, v2
	v_mul_f32_e32 v85, v34, v3
	;; [unrolled: 1-line block ×3, first 2 shown]
	v_mov_b32_e32 v95, v23
	v_mov_b32_e32 v71, v29
	;; [unrolled: 1-line block ×12, first 2 shown]
	v_pk_fma_f32 v[100:101], v[68:69], v[8:9], v[98:99] op_sel:[0,1,1] op_sel_hi:[1,1,0]
	v_pk_fma_f32 v[68:69], v[68:69], v[8:9], v[98:99] op_sel:[0,1,1] op_sel_hi:[1,1,0] neg_lo:[1,0,0] neg_hi:[1,0,0]
	v_mov_b32_e32 v98, v27
	v_mov_b32_e32 v99, v34
	;; [unrolled: 1-line block ×5, first 2 shown]
	v_mul_f32_e32 v19, v39, v5
	v_fma_f32 v42, v26, v10, -v18
	v_add_f32_e32 v21, v86, v88
	v_add_f32_e32 v18, v91, v93
	v_pk_add_f32 v[40:41], v[86:87], v[88:89] neg_lo:[0,1] neg_hi:[0,1]
	v_pk_add_f32 v[22:23], v[90:91], v[92:93] neg_lo:[0,1] neg_hi:[0,1]
	v_pk_add_f32 v[32:33], v[94:95], v[96:97]
	v_pk_add_f32 v[70:71], v[70:71], v[74:75]
	v_pk_add_f32 v[28:29], v[36:37], v[28:29] neg_lo:[0,1] neg_hi:[0,1]
	v_mov_b32_e32 v102, v10
	v_mov_b32_e32 v103, v2
	v_pk_mul_f32 v[26:27], v[26:27], v[34:35]
	v_fma_f32 v80, v38, v4, -v19
	v_add_f32_e32 v36, v18, v70
	v_add_f32_e32 v75, v33, v21
	v_mov_b32_e32 v20, v32
	v_mov_b32_e32 v19, v71
	v_mov_b32_e32 v92, v28
	v_mov_b32_e32 v93, v41
	v_mov_b32_e32 v94, v22
	v_mov_b32_e32 v95, v29
	v_mov_b32_e32 v37, v71
	v_mov_b32_e32 v74, v32
	v_pk_fma_f32 v[34:35], v[98:99], v[10:11], v[26:27]
	v_pk_fma_f32 v[26:27], v[98:99], v[102:103], v[26:27] neg_lo:[0,0,1] neg_hi:[0,0,1]
	v_mov_b32_e32 v98, v39
	v_mov_b32_e32 v39, v31
	;; [unrolled: 1-line block ×3, first 2 shown]
	v_mul_f32_e32 v81, v30, v1
	v_pk_add_f32 v[86:87], v[20:21], v[18:19] neg_lo:[0,1] neg_hi:[0,1]
	v_pk_add_f32 v[90:91], v[28:29], v[22:23]
	v_pk_add_f32 v[92:93], v[92:93], v[94:95] neg_lo:[0,1] neg_hi:[0,1]
	v_mov_b32_e32 v94, v40
	v_mov_b32_e32 v29, v23
	v_pk_add_f32 v[36:37], v[36:37], v[74:75]
	v_mov_b32_e32 v99, v30
	v_mov_b32_e32 v102, v4
	;; [unrolled: 1-line block ×3, first 2 shown]
	v_pk_mul_f32 v[30:31], v[38:39], v[0:1]
	v_pk_add_f32 v[88:89], v[70:71], v[32:33] neg_lo:[0,1] neg_hi:[0,1]
	v_pk_add_f32 v[28:29], v[94:95], v[28:29] neg_lo:[0,1] neg_hi:[0,1]
	v_pk_add_f32 v[78:79], v[78:79], v[36:37]
	v_pk_mul_f32 v[86:87], v[86:87], s[12:13]
	v_pk_mul_f32 v[92:93], v[92:93], s[18:19]
	v_pk_fma_f32 v[38:39], v[98:99], v[4:5], v[30:31]
	v_pk_fma_f32 v[30:31], v[98:99], v[102:103], v[30:31] neg_lo:[0,0,1] neg_hi:[0,0,1]
	v_pk_mul_f32 v[98:99], v[72:73], v[6:7] op_sel_hi:[1,0]
	v_mov_b32_e32 v0, v7
	v_pk_add_f32 v[74:75], v[90:91], v[40:41]
	v_pk_mul_f32 v[90:91], v[88:89], s[14:15]
	v_pk_mul_f32 v[94:95], v[28:29], s[16:17]
	v_pk_fma_f32 v[36:37], v[36:37], s[10:11], v[78:79] op_sel_hi:[1,0,1] neg_lo:[1,0,0] neg_hi:[1,0,0]
	v_pk_fma_f32 v[88:89], v[88:89], s[14:15], v[86:87]
	v_pk_fma_f32 v[28:29], v[28:29], s[16:17], v[92:93]
	v_pk_fma_f32 v[102:103], v[72:73], v[0:1], v[98:99] op_sel:[0,0,1] op_sel_hi:[1,0,0]
	v_pk_fma_f32 v[72:73], v[72:73], v[0:1], v[98:99] op_sel:[0,0,1] op_sel_hi:[1,0,0] neg_lo:[1,0,0] neg_hi:[1,0,0]
	v_pk_add_f32 v[88:89], v[88:89], v[36:37]
	v_pk_fma_f32 v[28:29], v[74:75], s[0:1], v[28:29] op_sel_hi:[1,0,1]
	v_mov_b32_e32 v101, v69
	v_mov_b32_e32 v35, v27
	;; [unrolled: 1-line block ×6, first 2 shown]
	v_pk_add_f32 v[96:97], v[88:89], v[28:29] neg_lo:[0,1] neg_hi:[0,1]
	v_pk_add_f32 v[28:29], v[88:89], v[28:29]
	v_pk_add_f32 v[88:89], v[42:43], v[80:81]
	;; [unrolled: 1-line block ×3, first 2 shown]
	v_pk_add_f32 v[100:101], v[100:101], v[102:103] neg_lo:[0,1] neg_hi:[0,1]
	v_pk_add_f32 v[102:103], v[34:35], v[38:39]
	v_pk_add_f32 v[34:35], v[34:35], v[38:39] neg_lo:[0,1] neg_hi:[0,1]
	v_pk_add_f32 v[38:39], v[82:83], v[84:85]
	v_mov_b32_e32 v69, v42
	v_mov_b32_e32 v68, v39
	;; [unrolled: 1-line block ×8, first 2 shown]
	v_pk_add_f32 v[42:43], v[68:69], v[42:43] neg_lo:[0,1] neg_hi:[0,1]
	v_pk_add_f32 v[84:85], v[88:89], v[38:39]
	v_pk_add_f32 v[26:27], v[30:31], v[26:27]
	v_mov_b32_e32 v80, v42
	v_mov_b32_e32 v81, v101
	;; [unrolled: 1-line block ×7, first 2 shown]
	v_pk_add_f32 v[80:81], v[80:81], v[34:35] neg_lo:[0,1] neg_hi:[0,1]
	v_pk_add_f32 v[30:31], v[30:31], v[88:89] neg_lo:[0,1] neg_hi:[0,1]
	v_mov_b32_e32 v39, v85
	v_mov_b32_e32 v104, v26
	;; [unrolled: 1-line block ×3, first 2 shown]
	v_pk_add_f32 v[26:27], v[84:85], v[26:27]
	v_pk_add_f32 v[68:69], v[68:69], v[42:43] neg_lo:[0,1] neg_hi:[0,1]
	v_pk_mul_f32 v[80:81], v[80:81], s[18:19]
	v_pk_add_f32 v[82:83], v[34:35], v[42:43]
	v_pk_add_f32 v[104:105], v[38:39], v[104:105] neg_lo:[0,1] neg_hi:[0,1]
	v_pk_add_f32 v[76:77], v[76:77], v[26:27]
	v_pk_mul_f32 v[30:31], v[30:31], s[12:13]
	v_pk_mul_f32 v[72:73], v[68:69], s[16:17]
	v_pk_add_f32 v[82:83], v[82:83], v[100:101]
	v_pk_mul_f32 v[84:85], v[104:105], s[14:15]
	v_pk_fma_f32 v[26:27], v[26:27], s[10:11], v[76:77] op_sel_hi:[1,0,1] neg_lo:[1,0,0] neg_hi:[1,0,0]
	v_pk_fma_f32 v[104:105], v[104:105], s[14:15], v[30:31]
	v_pk_fma_f32 v[68:69], v[68:69], s[16:17], v[80:81]
	v_pk_add_f32 v[104:105], v[104:105], v[26:27]
	v_pk_fma_f32 v[68:69], v[82:83], s[0:1], v[68:69] op_sel_hi:[1,0,1]
	v_mov_b32_e32 v35, v43
	v_pk_add_f32 v[106:107], v[104:105], v[68:69]
	v_pk_add_f32 v[68:69], v[104:105], v[68:69] neg_lo:[0,1] neg_hi:[0,1]
	v_mov_b32_e32 v104, v106
	v_mov_b32_e32 v105, v69
	v_mov_b32_e32 v89, v102
	v_mov_b32_e32 v39, v98
	ds_write2_b64 v45, v[76:77], v[104:105] offset1:34
	v_pk_add_f32 v[34:35], v[34:35], v[100:101] neg_lo:[0,1] neg_hi:[0,1]
	s_mov_b32 s10, 0x3f5ff5aa
	v_pk_add_f32 v[38:39], v[88:89], v[38:39] neg_lo:[0,1] neg_hi:[0,1]
	s_mov_b32 s12, 0x3f3bfb3b
	v_mov_b32_e32 v42, v84
	v_mov_b32_e32 v43, v31
	;; [unrolled: 1-line block ×6, first 2 shown]
	v_pk_fma_f32 v[42:43], v[38:39], s[12:13], v[42:43] op_sel_hi:[1,0,1] neg_lo:[1,0,1] neg_hi:[1,0,1]
	v_pk_fma_f32 v[76:77], v[34:35], s[10:11], v[76:77] op_sel_hi:[1,0,1] neg_lo:[1,0,1] neg_hi:[1,0,1]
	;; [unrolled: 1-line block ×4, first 2 shown]
	v_pk_add_f32 v[42:43], v[42:43], v[26:27]
	v_pk_fma_f32 v[76:77], v[82:83], s[0:1], v[76:77] op_sel_hi:[1,0,1]
	v_pk_add_f32 v[26:27], v[30:31], v[26:27]
	v_pk_fma_f32 v[30:31], v[82:83], s[0:1], v[34:35] op_sel_hi:[1,0,1]
	v_pk_add_f32 v[88:89], v[42:43], v[76:77]
	v_pk_add_f32 v[42:43], v[42:43], v[76:77] neg_lo:[0,1] neg_hi:[0,1]
	v_pk_add_f32 v[34:35], v[26:27], v[30:31] neg_lo:[0,1] neg_hi:[0,1]
	v_pk_add_f32 v[26:27], v[26:27], v[30:31]
	v_mov_b32_e32 v76, v88
	v_mov_b32_e32 v77, v43
	;; [unrolled: 1-line block ×6, first 2 shown]
	ds_write2_b64 v45, v[76:77], v[30:31] offset0:68 offset1:102
	v_pk_add_f32 v[18:19], v[18:19], v[70:71] neg_lo:[0,1] neg_hi:[0,1]
	v_pk_add_f32 v[20:21], v[22:23], v[40:41] neg_lo:[0,1] neg_hi:[0,1]
	v_mov_b32_e32 v22, v90
	v_mov_b32_e32 v23, v87
	v_mov_b32_e32 v30, v94
	v_mov_b32_e32 v31, v93
	v_pk_fma_f32 v[22:23], v[18:19], s[12:13], v[22:23] op_sel_hi:[1,0,1] neg_lo:[1,0,1] neg_hi:[1,0,1]
	v_pk_fma_f32 v[30:31], v[20:21], s[10:11], v[30:31] op_sel_hi:[1,0,1] neg_lo:[1,0,1] neg_hi:[1,0,1]
	v_pk_add_f32 v[22:23], v[22:23], v[36:37]
	v_pk_fma_f32 v[30:31], v[74:75], s[0:1], v[30:31] op_sel_hi:[1,0,1]
	v_mov_b32_e32 v87, v91
	v_mov_b32_e32 v93, v95
	v_mov_b32_e32 v27, v35
	v_mov_b32_e32 v43, v89
	v_pk_add_f32 v[32:33], v[22:23], v[30:31] neg_lo:[0,1] neg_hi:[0,1]
	v_pk_add_f32 v[22:23], v[22:23], v[30:31]
	v_pk_fma_f32 v[18:19], v[18:19], s[12:13], v[86:87] op_sel_hi:[1,0,1] neg_lo:[0,0,1] neg_hi:[0,0,1]
	v_pk_fma_f32 v[20:21], v[20:21], s[10:11], v[92:93] op_sel_hi:[1,0,1] neg_lo:[0,0,1] neg_hi:[0,0,1]
	ds_write2_b64 v45, v[26:27], v[42:43] offset0:136 offset1:170
	v_mov_b32_e32 v26, v28
	v_mov_b32_e32 v27, v97
	;; [unrolled: 1-line block ×4, first 2 shown]
	v_pk_add_f32 v[18:19], v[18:19], v[36:37]
	v_pk_fma_f32 v[20:21], v[74:75], s[0:1], v[20:21] op_sel_hi:[1,0,1]
	ds_write2_b64 v24, v[26:27], v[30:31] offset0:16 offset1:50
	v_pk_add_f32 v[26:27], v[18:19], v[20:21]
	v_pk_add_f32 v[18:19], v[18:19], v[20:21] neg_lo:[0,1] neg_hi:[0,1]
	v_mov_b32_e32 v21, v27
	v_mov_b32_e32 v20, v18
	;; [unrolled: 1-line block ×3, first 2 shown]
	v_mul_hi_i32_i24_e32 v19, 0xffffffd8, v44
	v_mul_i32_i24_e32 v18, 0xffffffd8, v44
	v_mov_b32_e32 v69, v107
	v_mov_b32_e32 v33, v23
	;; [unrolled: 1-line block ×3, first 2 shown]
	v_lshl_add_u64 v[16:17], v[16:17], 0, v[18:19]
	ds_write2_b64 v45, v[68:69], v[78:79] offset0:204 offset1:238
	ds_write2_b64 v24, v[20:21], v[26:27] offset0:84 offset1:118
	;; [unrolled: 1-line block ×3, first 2 shown]
	s_waitcnt lgkmcnt(0)
	s_barrier
	global_load_dwordx2 v[76:77], v[16:17], off offset:1768
	global_load_dwordx2 v[78:79], v[16:17], off offset:2040
	;; [unrolled: 1-line block ×7, first 2 shown]
	ds_read2_b64 v[40:43], v45 offset0:204 offset1:238
	ds_read2_b64 v[26:29], v45 offset1:34
	ds_read2_b64 v[16:19], v24 offset0:16 offset1:50
	ds_read2_b64 v[20:23], v24 offset0:84 offset1:118
	v_lshl_add_u32 v104, v44, 3, v178
	v_add_u32_e32 v105, v165, v178
	s_waitcnt vmcnt(6)
	v_mov_b32_e32 v0, v77
	s_waitcnt lgkmcnt(3)
	v_pk_mul_f32 v[30:31], v[42:43], v[0:1] op_sel:[1,0] op_sel_hi:[0,1]
	v_pk_fma_f32 v[34:35], v[42:43], v[76:77], v[30:31] neg_lo:[0,0,1] neg_hi:[0,0,1]
	v_pk_mul_f32 v[30:31], v[42:43], v[76:77] op_sel:[1,0] op_sel_hi:[0,1]
	s_waitcnt vmcnt(5)
	v_mov_b32_e32 v0, v79
	v_mov_b32_e32 v25, v30
	s_waitcnt lgkmcnt(1)
	v_pk_mul_f32 v[30:31], v[16:17], v[0:1] op_sel:[1,0] op_sel_hi:[0,1]
	v_pk_fma_f32 v[38:39], v[16:17], v[78:79], v[30:31] neg_lo:[0,0,1] neg_hi:[0,0,1]
	v_pk_mul_f32 v[30:31], v[16:17], v[78:79] op_sel:[1,0] op_sel_hi:[0,1]
	v_pk_fma_f32 v[36:37], v[42:43], v[76:77], v[24:25] op_sel:[1,0,0] op_sel_hi:[0,1,1]
	v_mov_b32_e32 v25, v30
	s_waitcnt vmcnt(4)
	v_mov_b32_e32 v0, v71
	v_pk_fma_f32 v[42:43], v[16:17], v[78:79], v[24:25] op_sel:[1,0,0] op_sel_hi:[0,1,1]
	s_waitcnt lgkmcnt(0)
	v_pk_mul_f32 v[16:17], v[22:23], v[0:1] op_sel:[1,0] op_sel_hi:[0,1]
	v_pk_fma_f32 v[86:87], v[22:23], v[70:71], v[16:17] neg_lo:[0,0,1] neg_hi:[0,0,1]
	v_pk_mul_f32 v[16:17], v[22:23], v[70:71] op_sel:[1,0] op_sel_hi:[0,1]
	v_mov_b32_e32 v17, v16
	ds_read2_b64 v[30:33], v45 offset0:68 offset1:102
	v_pk_fma_f32 v[88:89], v[22:23], v[70:71], v[16:17] op_sel:[1,0,0] op_sel_hi:[0,1,1]
	s_waitcnt vmcnt(3)
	v_pk_mul_f32 v[16:17], v[18:19], v[80:81] op_sel:[0,1]
	v_mov_b32_e32 v35, v37
	v_pk_fma_f32 v[82:83], v[18:19], v[80:81], v[16:17] op_sel:[0,0,1] op_sel_hi:[1,1,0] neg_lo:[0,0,1] neg_hi:[0,0,1]
	v_pk_fma_f32 v[16:17], v[18:19], v[80:81], v[16:17] op_sel:[0,0,1] op_sel_hi:[1,0,0]
	v_pk_add_f32 v[18:19], v[26:27], v[34:35] neg_lo:[0,1] neg_hi:[0,1]
	ds_read2_b64 v[34:37], v24 offset0:152 offset1:186
	v_mov_b32_e32 v83, v17
	s_waitcnt vmcnt(2)
	v_pk_mul_f32 v[16:17], v[20:21], v[74:75] op_sel:[0,1]
	v_mov_b32_e32 v39, v43
	v_pk_fma_f32 v[84:85], v[20:21], v[74:75], v[16:17] op_sel:[0,0,1] op_sel_hi:[1,1,0] neg_lo:[0,0,1] neg_hi:[0,0,1]
	v_pk_fma_f32 v[16:17], v[20:21], v[74:75], v[16:17] op_sel:[0,0,1] op_sel_hi:[1,0,0]
	v_pk_add_f32 v[22:23], v[28:29], v[38:39] neg_lo:[0,1] neg_hi:[0,1]
	v_mov_b32_e32 v85, v17
	v_pk_fma_f32 v[16:17], v[26:27], 2.0, v[18:19] op_sel_hi:[1,0,1] neg_lo:[0,0,1] neg_hi:[0,0,1]
	s_waitcnt lgkmcnt(1)
	v_pk_add_f32 v[26:27], v[30:31], v[82:83] neg_lo:[0,1] neg_hi:[0,1]
	v_pk_fma_f32 v[20:21], v[28:29], 2.0, v[22:23] op_sel_hi:[1,0,1] neg_lo:[0,0,1] neg_hi:[0,0,1]
	v_pk_fma_f32 v[24:25], v[30:31], 2.0, v[26:27] op_sel_hi:[1,0,1] neg_lo:[0,0,1] neg_hi:[0,0,1]
	v_pk_add_f32 v[30:31], v[32:33], v[84:85] neg_lo:[0,1] neg_hi:[0,1]
	ds_read2_b64 v[82:85], v45 offset0:136 offset1:170
	v_pk_fma_f32 v[28:29], v[32:33], 2.0, v[30:31] op_sel_hi:[1,0,1] neg_lo:[0,0,1] neg_hi:[0,0,1]
	s_waitcnt vmcnt(1) lgkmcnt(1)
	v_pk_mul_f32 v[32:33], v[34:35], v[72:73] op_sel:[0,1]
	v_mov_b32_e32 v87, v89
	v_pk_fma_f32 v[38:39], v[34:35], v[72:73], v[32:33] op_sel:[0,0,1] op_sel_hi:[1,1,0] neg_lo:[0,0,1] neg_hi:[0,0,1]
	v_pk_fma_f32 v[32:33], v[34:35], v[72:73], v[32:33] op_sel:[0,0,1] op_sel_hi:[1,0,0]
	s_waitcnt lgkmcnt(0)
	v_pk_add_f32 v[34:35], v[82:83], v[86:87] neg_lo:[0,1] neg_hi:[0,1]
	v_mov_b32_e32 v39, v33
	s_waitcnt vmcnt(0)
	v_pk_mul_f32 v[32:33], v[36:37], v[68:69] op_sel:[0,1]
	v_pk_add_f32 v[38:39], v[84:85], v[38:39] neg_lo:[0,1] neg_hi:[0,1]
	v_pk_fma_f32 v[42:43], v[36:37], v[68:69], v[32:33] op_sel:[0,0,1] op_sel_hi:[1,1,0] neg_lo:[0,0,1] neg_hi:[0,0,1]
	v_pk_fma_f32 v[32:33], v[36:37], v[68:69], v[32:33] op_sel:[0,0,1] op_sel_hi:[1,0,0]
	v_pk_fma_f32 v[36:37], v[84:85], 2.0, v[38:39] op_sel_hi:[1,0,1] neg_lo:[0,0,1] neg_hi:[0,0,1]
	v_mov_b32_e32 v43, v33
	v_pk_add_f32 v[42:43], v[40:41], v[42:43] neg_lo:[0,1] neg_hi:[0,1]
	v_pk_fma_f32 v[32:33], v[82:83], 2.0, v[34:35] op_sel_hi:[1,0,1] neg_lo:[0,0,1] neg_hi:[0,0,1]
	v_pk_fma_f32 v[40:41], v[40:41], 2.0, v[42:43] op_sel_hi:[1,0,1] neg_lo:[0,0,1] neg_hi:[0,0,1]
	v_add_u32_e32 v0, 0x400, v104
	ds_write2_b64 v104, v[16:17], v[20:21] offset1:34
	ds_write2_b64 v0, v[18:19], v[22:23] offset0:110 offset1:144
	ds_write_b64 v104, v[24:25] offset:544
	ds_write_b64 v105, v[26:27] offset:2448
	;; [unrolled: 1-line block ×10, first 2 shown]
	s_waitcnt lgkmcnt(0)
	s_barrier
	s_and_saveexec_b64 s[0:1], vcc
	s_cbranch_execz .LBB0_9
; %bb.8:
	global_load_dwordx2 v[102:103], v179, s[2:3] offset:3808
	s_add_u32 s10, s2, 0xee0
	s_addc_u32 s11, s3, 0
	global_load_dwordx2 v[114:115], v179, s[10:11] offset:224
	global_load_dwordx2 v[116:117], v179, s[10:11] offset:448
	;; [unrolled: 1-line block ×15, first 2 shown]
	ds_read2_b64 v[82:85], v104 offset1:28
	ds_read2_b64 v[86:89], v104 offset0:56 offset1:84
	ds_read2_b64 v[90:93], v104 offset0:112 offset1:140
	global_load_dwordx2 v[146:147], v179, s[10:11] offset:3584
	ds_read2_b64 v[94:97], v104 offset0:168 offset1:196
	ds_read2_b64 v[98:101], v104 offset0:224 offset1:252
	v_add_u32_e32 v0, 0x800, v104
	ds_read2_b64 v[106:109], v0 offset0:24 offset1:52
	ds_read2_b64 v[110:113], v0 offset0:80 offset1:108
	s_waitcnt vmcnt(14) lgkmcnt(5)
	v_mul_f32_e32 v47, v87, v117
	s_waitcnt vmcnt(13)
	v_mul_f32_e32 v62, v89, v121
	s_waitcnt vmcnt(12) lgkmcnt(4)
	v_mul_f32_e32 v63, v91, v123
	s_waitcnt vmcnt(11)
	v_mul_f32_e32 v119, v93, v125
	;; [unrolled: 4-line block ×5, first 2 shown]
	v_mul_f32_e32 v46, v83, v103
	v_mul_f32_e32 v149, v82, v103
	v_fma_f32 v148, v82, v102, -v46
	v_fmac_f32_e32 v149, v83, v102
	v_mul_f32_e32 v46, v85, v115
	v_mul_f32_e32 v83, v84, v115
	;; [unrolled: 1-line block ×12, first 2 shown]
	v_fma_f32 v82, v84, v114, -v46
	v_fmac_f32_e32 v83, v85, v114
	v_fma_f32 v102, v86, v116, -v47
	v_fmac_f32_e32 v103, v87, v116
	;; [unrolled: 2-line block ×11, first 2 shown]
	ds_write2_b64 v104, v[148:149], v[82:83] offset1:28
	ds_write2_b64 v104, v[102:103], v[114:115] offset0:56 offset1:84
	ds_write2_b64 v104, v[116:117], v[120:121] offset0:112 offset1:140
	;; [unrolled: 1-line block ×5, first 2 shown]
	ds_read2_b64 v[82:85], v0 offset0:136 offset1:164
	s_waitcnt vmcnt(4) lgkmcnt(7)
	v_mul_f32_e32 v137, v111, v139
	v_mul_f32_e32 v135, v110, v139
	s_waitcnt vmcnt(3)
	v_mul_f32_e32 v46, v113, v141
	v_mul_f32_e32 v87, v112, v141
	v_fma_f32 v134, v110, v138, -v137
	v_fmac_f32_e32 v135, v111, v138
	v_fma_f32 v86, v112, v140, -v46
	v_fmac_f32_e32 v87, v113, v140
	ds_write2_b64 v0, v[134:135], v[86:87] offset0:80 offset1:108
	s_waitcnt vmcnt(2) lgkmcnt(1)
	v_mul_f32_e32 v46, v83, v143
	v_mul_f32_e32 v87, v82, v143
	v_fma_f32 v86, v82, v142, -v46
	v_fmac_f32_e32 v87, v83, v142
	ds_read_b64 v[82:83], v104 offset:3584
	s_waitcnt vmcnt(1)
	v_mul_f32_e32 v46, v85, v145
	v_mul_f32_e32 v89, v84, v145
	v_fma_f32 v88, v84, v144, -v46
	v_fmac_f32_e32 v89, v85, v144
	ds_write2_b64 v0, v[86:87], v[88:89] offset0:136 offset1:164
	s_waitcnt vmcnt(0) lgkmcnt(1)
	v_mul_f32_e32 v0, v83, v147
	v_mul_f32_e32 v85, v82, v147
	v_fma_f32 v84, v82, v146, -v0
	v_fmac_f32_e32 v85, v83, v146
	ds_write_b64 v104, v[84:85] offset:3584
.LBB0_9:
	s_or_b64 exec, exec, s[0:1]
	v_mov_b32_e32 v0, v49
	s_waitcnt lgkmcnt(0)
	s_barrier
	s_and_saveexec_b64 s[0:1], vcc
	s_cbranch_execz .LBB0_11
; %bb.10:
	ds_read2_b64 v[16:19], v104 offset1:28
	ds_read2_b64 v[20:23], v104 offset0:56 offset1:84
	ds_read2_b64 v[24:27], v104 offset0:112 offset1:140
	ds_read2_b64 v[28:31], v104 offset0:168 offset1:196
	ds_read2_b64 v[32:35], v104 offset0:224 offset1:252
	v_add_u32_e32 v12, 0x800, v104
	ds_read2_b64 v[36:39], v12 offset0:24 offset1:52
	ds_read2_b64 v[40:43], v12 offset0:80 offset1:108
	;; [unrolled: 1-line block ×3, first 2 shown]
	ds_read_b64 v[66:67], v104 offset:3584
.LBB0_11:
	s_or_b64 exec, exec, s[0:1]
	v_mov_b32_e32 v102, v64
	v_mov_b32_e32 v103, v64
	;; [unrolled: 1-line block ×33, first 2 shown]
	v_add_u32_e32 v110, 0x220, v105
	v_add_u32_e32 v109, 0x330, v105
	;; [unrolled: 1-line block ×5, first 2 shown]
	s_waitcnt lgkmcnt(0)
	s_barrier
	s_and_saveexec_b64 s[0:1], vcc
	s_cbranch_execz .LBB0_13
; %bb.12:
	v_accvgpr_write_b32 a8, v106
	v_accvgpr_write_b32 a9, v107
	v_pk_add_f32 v[106:107], v[18:19], v[16:17]
	v_pk_add_f32 v[198:199], v[18:19], v[66:67] neg_lo:[0,1] neg_hi:[0,1]
	v_pk_add_f32 v[106:107], v[20:21], v[106:107]
	s_mov_b32 s26, 0xbeb8f4ab
	v_pk_add_f32 v[106:107], v[22:23], v[106:107]
	v_pk_add_f32 v[194:195], v[66:67], v[18:19]
	;; [unrolled: 1-line block ×3, first 2 shown]
	v_pk_add_f32 v[196:197], v[20:21], v[14:15] neg_lo:[0,1] neg_hi:[0,1]
	v_pk_add_f32 v[106:107], v[26:27], v[106:107]
	v_pk_add_f32 v[190:191], v[22:23], v[12:13] neg_lo:[0,1] neg_hi:[0,1]
	v_pk_add_f32 v[106:107], v[28:29], v[106:107]
	v_accvgpr_write_b32 a2, v188
	v_pk_add_f32 v[106:107], v[30:31], v[106:107]
	v_pk_add_f32 v[188:189], v[12:13], v[22:23]
	;; [unrolled: 1-line block ×3, first 2 shown]
	s_mov_b32 s16, 0x3f6eb680
	v_pk_add_f32 v[106:107], v[34:35], v[106:107]
	s_mov_b32 s42, 0xbf2c7751
	v_pk_add_f32 v[106:107], v[36:37], v[106:107]
	v_pk_add_f32 v[192:193], v[14:15], v[20:21]
	;; [unrolled: 1-line block ×3, first 2 shown]
	v_accvgpr_write_b32 a4, v156
	v_pk_add_f32 v[106:107], v[40:41], v[106:107]
	v_pk_add_f32 v[150:151], v[32:33], v[34:35] neg_lo:[0,1] neg_hi:[0,1]
	v_pk_add_f32 v[106:107], v[42:43], v[106:107]
	v_pk_add_f32 v[148:149], v[34:35], v[32:33]
	;; [unrolled: 1-line block ×3, first 2 shown]
	v_pk_mul_f32 v[12:13], v[198:199], s[26:27] op_sel_hi:[1,0]
	v_pk_add_f32 v[106:107], v[14:15], v[106:107]
	v_pk_fma_f32 v[14:15], v[194:195], s[16:17], v[12:13] op_sel:[0,0,1] op_sel_hi:[1,0,0]
	v_pk_fma_f32 v[34:35], v[194:195], s[16:17], v[12:13] op_sel:[0,0,1] op_sel_hi:[1,0,0] neg_lo:[0,0,1] neg_hi:[0,0,1]
	s_mov_b32 s14, 0x3f3d2fb0
	v_pk_mul_f32 v[18:19], v[196:197], s[42:43] op_sel_hi:[1,0]
	v_accvgpr_write_b32 a1, v158
	v_accvgpr_write_b32 a3, v159
	v_pk_add_f32 v[158:159], v[30:31], v[36:37] neg_lo:[0,1] neg_hi:[0,1]
	v_accvgpr_write_b32 a5, v157
	v_pk_add_f32 v[156:157], v[36:37], v[30:31]
	v_mov_b32_e32 v12, v14
	v_accvgpr_write_b32 a11, v15
	v_mov_b32_e32 v13, v35
	v_pk_fma_f32 v[14:15], v[192:193], s[14:15], v[18:19] op_sel:[0,0,1] op_sel_hi:[1,0,0]
	v_pk_fma_f32 v[30:31], v[192:193], s[14:15], v[18:19] op_sel:[0,0,1] op_sel_hi:[1,0,0] neg_lo:[0,0,1] neg_hi:[0,0,1]
	v_pk_add_f32 v[12:13], v[16:17], v[12:13]
	v_mov_b32_e32 v18, v14
	v_mov_b32_e32 v19, v31
	s_mov_b32 s48, 0xbf65296c
	v_pk_add_f32 v[12:13], v[18:19], v[12:13]
	s_mov_b32 s12, 0x3ee437d1
	v_pk_mul_f32 v[18:19], v[190:191], s[48:49] op_sel_hi:[1,0]
	v_accvgpr_write_b32 a0, v186
	v_pk_add_f32 v[186:187], v[24:25], v[42:43] neg_lo:[0,1] neg_hi:[0,1]
	v_pk_add_f32 v[180:181], v[42:43], v[24:25]
	v_accvgpr_write_b32 a13, v15
	v_pk_fma_f32 v[14:15], v[188:189], s[12:13], v[18:19] op_sel:[0,0,1] op_sel_hi:[1,0,0]
	v_pk_fma_f32 v[24:25], v[188:189], s[12:13], v[18:19] op_sel:[0,0,1] op_sel_hi:[1,0,0] neg_lo:[0,0,1] neg_hi:[0,0,1]
	v_mov_b32_e32 v18, v14
	v_mov_b32_e32 v19, v25
	s_mov_b32 s38, 0xbf7ee86f
	v_pk_add_f32 v[12:13], v[18:19], v[12:13]
	s_mov_b32 s10, 0x3dbcf732
	v_pk_mul_f32 v[18:19], v[186:187], s[38:39] op_sel_hi:[1,0]
	v_pk_add_f32 v[166:167], v[28:29], v[38:39] neg_lo:[0,1] neg_hi:[0,1]
	v_accvgpr_write_b32 a6, v164
	v_accvgpr_write_b32 a7, v165
	v_pk_add_f32 v[164:165], v[38:39], v[28:29]
	v_accvgpr_write_b32 a15, v15
	v_pk_fma_f32 v[14:15], v[180:181], s[10:11], v[18:19] op_sel:[0,0,1] op_sel_hi:[1,0,0]
	v_pk_fma_f32 v[28:29], v[180:181], s[10:11], v[18:19] op_sel:[0,0,1] op_sel_hi:[1,0,0] neg_lo:[0,0,1] neg_hi:[0,0,1]
	v_pk_add_f32 v[174:175], v[26:27], v[40:41] neg_lo:[0,1] neg_hi:[0,1]
	v_mov_b32_e32 v18, v14
	v_mov_b32_e32 v19, v29
	s_mov_b32 s20, 0xbf763a35
	v_pk_add_f32 v[172:173], v[40:41], v[26:27]
	v_pk_add_f32 v[12:13], v[18:19], v[12:13]
	s_mov_b32 s18, 0xbe8c1d8e
	v_pk_mul_f32 v[18:19], v[174:175], s[20:21] op_sel_hi:[1,0]
	v_accvgpr_write_b32 a17, v15
	v_pk_fma_f32 v[14:15], v[172:173], s[18:19], v[18:19] op_sel:[0,0,1] op_sel_hi:[1,0,0]
	v_pk_fma_f32 v[32:33], v[172:173], s[18:19], v[18:19] op_sel:[0,0,1] op_sel_hi:[1,0,0] neg_lo:[0,0,1] neg_hi:[0,0,1]
	v_mov_b32_e32 v18, v14
	v_mov_b32_e32 v19, v33
	s_mov_b32 s24, 0xbf4c4adb
	v_pk_add_f32 v[12:13], v[18:19], v[12:13]
	s_mov_b32 s22, 0xbf1a4643
	v_pk_mul_f32 v[18:19], v[166:167], s[24:25] op_sel_hi:[1,0]
	v_accvgpr_write_b32 a19, v15
	v_pk_fma_f32 v[14:15], v[164:165], s[22:23], v[18:19] op_sel:[0,0,1] op_sel_hi:[1,0,0]
	v_pk_fma_f32 v[36:37], v[164:165], s[22:23], v[18:19] op_sel:[0,0,1] op_sel_hi:[1,0,0] neg_lo:[0,0,1] neg_hi:[0,0,1]
	v_mov_b32_e32 v18, v14
	v_mov_b32_e32 v19, v37
	s_mov_b32 s30, 0xbf06c442
	;; [unrolled: 9-line block ×3, first 2 shown]
	v_pk_add_f32 v[12:13], v[18:19], v[12:13]
	s_mov_b32 s34, 0xbf7ba420
	v_pk_mul_f32 v[18:19], v[150:151], s[36:37] op_sel_hi:[1,0]
	v_pk_add_f32 v[106:107], v[66:67], v[106:107]
	v_accvgpr_write_b32 a23, v15
	v_pk_fma_f32 v[14:15], v[148:149], s[34:35], v[18:19] op_sel:[0,0,1] op_sel_hi:[1,0,0]
	v_pk_fma_f32 v[66:67], v[148:149], s[34:35], v[18:19] op_sel:[0,0,1] op_sel_hi:[1,0,0] neg_lo:[0,0,1] neg_hi:[0,0,1]
	v_mov_b32_e32 v18, v14
	v_mov_b32_e32 v19, v67
	v_lshl_add_u32 v105, v118, 3, v178
	v_pk_add_f32 v[12:13], v[18:19], v[12:13]
	ds_write2_b64 v105, v[106:107], v[12:13] offset1:1
	v_pk_mul_f32 v[12:13], v[198:199], s[42:43] op_sel_hi:[1,0]
	v_accvgpr_write_b32 a25, v15
	v_pk_fma_f32 v[14:15], v[194:195], s[14:15], v[12:13] op_sel:[0,0,1] op_sel_hi:[1,0,0]
	v_pk_fma_f32 v[106:107], v[194:195], s[14:15], v[12:13] op_sel:[0,0,1] op_sel_hi:[1,0,0] neg_lo:[0,0,1] neg_hi:[0,0,1]
	v_pk_mul_f32 v[18:19], v[196:197], s[38:39] op_sel_hi:[1,0]
	v_mov_b32_e32 v12, v14
	v_mov_b32_e32 v37, v15
	;; [unrolled: 1-line block ×3, first 2 shown]
	v_pk_fma_f32 v[14:15], v[192:193], s[10:11], v[18:19] op_sel:[0,0,1] op_sel_hi:[1,0,0]
	v_mov_b32_e32 v35, v110
	v_pk_fma_f32 v[110:111], v[192:193], s[10:11], v[18:19] op_sel:[0,0,1] op_sel_hi:[1,0,0] neg_lo:[0,0,1] neg_hi:[0,0,1]
	v_pk_add_f32 v[12:13], v[16:17], v[12:13]
	v_mov_b32_e32 v18, v14
	v_mov_b32_e32 v19, v111
	v_pk_add_f32 v[12:13], v[18:19], v[12:13]
	v_pk_mul_f32 v[18:19], v[190:191], s[24:25] op_sel_hi:[1,0]
	v_mov_b32_e32 v41, v15
	v_pk_fma_f32 v[14:15], v[188:189], s[22:23], v[18:19] op_sel:[0,0,1] op_sel_hi:[1,0,0]
	v_pk_fma_f32 v[114:115], v[188:189], s[22:23], v[18:19] op_sel:[0,0,1] op_sel_hi:[1,0,0] neg_lo:[0,0,1] neg_hi:[0,0,1]
	v_mov_b32_e32 v18, v14
	v_mov_b32_e32 v19, v115
	v_pk_add_f32 v[12:13], v[18:19], v[12:13]
	v_pk_mul_f32 v[18:19], v[186:187], s[36:37] op_sel_hi:[1,0]
	v_mov_b32_e32 v67, v15
	v_pk_fma_f32 v[14:15], v[180:181], s[34:35], v[18:19] op_sel:[0,0,1] op_sel_hi:[1,0,0]
	v_pk_fma_f32 v[118:119], v[180:181], s[34:35], v[18:19] op_sel:[0,0,1] op_sel_hi:[1,0,0] neg_lo:[0,0,1] neg_hi:[0,0,1]
	v_mov_b32_e32 v18, v14
	v_mov_b32_e32 v19, v119
	s_mov_b32 s54, 0x3f06c442
	v_pk_add_f32 v[12:13], v[18:19], v[12:13]
	v_pk_mul_f32 v[18:19], v[174:175], s[54:55] op_sel_hi:[1,0]
	v_accvgpr_write_b32 a27, v15
	v_pk_fma_f32 v[14:15], v[172:173], s[28:29], v[18:19] op_sel:[0,0,1] op_sel_hi:[1,0,0]
	v_pk_fma_f32 v[122:123], v[172:173], s[28:29], v[18:19] op_sel:[0,0,1] op_sel_hi:[1,0,0] neg_lo:[0,0,1] neg_hi:[0,0,1]
	v_mov_b32_e32 v18, v14
	v_mov_b32_e32 v19, v123
	s_mov_b32 s50, 0x3f763a35
	v_pk_add_f32 v[12:13], v[18:19], v[12:13]
	v_pk_mul_f32 v[18:19], v[166:167], s[50:51] op_sel_hi:[1,0]
	v_accvgpr_write_b32 a29, v15
	;; [unrolled: 8-line block ×4, first 2 shown]
	v_pk_fma_f32 v[14:15], v[148:149], s[16:17], v[18:19] op_sel:[0,0,1] op_sel_hi:[1,0,0]
	v_pk_fma_f32 v[134:135], v[148:149], s[16:17], v[18:19] op_sel:[0,0,1] op_sel_hi:[1,0,0] neg_lo:[0,0,1] neg_hi:[0,0,1]
	v_mov_b32_e32 v18, v14
	v_mov_b32_e32 v19, v135
	v_pk_add_f32 v[12:13], v[18:19], v[12:13]
	v_pk_mul_f32 v[18:19], v[198:199], s[48:49] op_sel_hi:[1,0]
	v_accvgpr_write_b32 a35, v15
	v_pk_fma_f32 v[14:15], v[194:195], s[12:13], v[18:19] op_sel:[0,0,1] op_sel_hi:[1,0,0]
	v_pk_fma_f32 v[138:139], v[194:195], s[12:13], v[18:19] op_sel:[0,0,1] op_sel_hi:[1,0,0] neg_lo:[0,0,1] neg_hi:[0,0,1]
	v_pk_mul_f32 v[22:23], v[196:197], s[24:25] op_sel_hi:[1,0]
	v_mov_b32_e32 v18, v14
	v_mov_b32_e32 v107, v15
	;; [unrolled: 1-line block ×3, first 2 shown]
	v_pk_fma_f32 v[14:15], v[192:193], s[22:23], v[22:23] op_sel:[0,0,1] op_sel_hi:[1,0,0]
	v_pk_fma_f32 v[142:143], v[192:193], s[22:23], v[22:23] op_sel:[0,0,1] op_sel_hi:[1,0,0] neg_lo:[0,0,1] neg_hi:[0,0,1]
	v_pk_add_f32 v[18:19], v[16:17], v[18:19]
	v_mov_b32_e32 v22, v14
	v_mov_b32_e32 v23, v143
	s_mov_b32 s46, 0x3e3c28d5
	v_pk_add_f32 v[18:19], v[22:23], v[18:19]
	v_pk_mul_f32 v[22:23], v[190:191], s[46:47] op_sel_hi:[1,0]
	v_mov_b32_e32 v111, v15
	v_pk_fma_f32 v[14:15], v[188:189], s[34:35], v[22:23] op_sel:[0,0,1] op_sel_hi:[1,0,0]
	v_pk_fma_f32 v[146:147], v[188:189], s[34:35], v[22:23] op_sel:[0,0,1] op_sel_hi:[1,0,0] neg_lo:[0,0,1] neg_hi:[0,0,1]
	v_mov_b32_e32 v22, v14
	v_mov_b32_e32 v23, v147
	v_pk_add_f32 v[18:19], v[22:23], v[18:19]
	v_pk_mul_f32 v[22:23], v[186:187], s[50:51] op_sel_hi:[1,0]
	v_mov_b32_e32 v115, v15
	v_pk_fma_f32 v[14:15], v[180:181], s[18:19], v[22:23] op_sel:[0,0,1] op_sel_hi:[1,0,0]
	v_pk_fma_f32 v[154:155], v[180:181], s[18:19], v[22:23] op_sel:[0,0,1] op_sel_hi:[1,0,0] neg_lo:[0,0,1] neg_hi:[0,0,1]
	v_mov_b32_e32 v22, v14
	v_mov_b32_e32 v23, v155
	s_mov_b32 s46, 0x3f2c7751
	v_pk_add_f32 v[18:19], v[22:23], v[18:19]
	v_pk_mul_f32 v[22:23], v[174:175], s[46:47] op_sel_hi:[1,0]
	v_mov_b32_e32 v119, v15
	v_pk_fma_f32 v[14:15], v[172:173], s[14:15], v[22:23] op_sel:[0,0,1] op_sel_hi:[1,0,0]
	v_mov_b32_e32 v29, v162
	v_mov_b32_e32 v31, v163
	v_pk_fma_f32 v[162:163], v[172:173], s[14:15], v[22:23] op_sel:[0,0,1] op_sel_hi:[1,0,0] neg_lo:[0,0,1] neg_hi:[0,0,1]
	v_mov_b32_e32 v22, v14
	v_mov_b32_e32 v23, v163
	v_pk_add_f32 v[18:19], v[22:23], v[18:19]
	v_pk_mul_f32 v[22:23], v[166:167], s[26:27] op_sel_hi:[1,0]
	v_mov_b32_e32 v123, v15
	v_pk_fma_f32 v[14:15], v[164:165], s[16:17], v[22:23] op_sel:[0,0,1] op_sel_hi:[1,0,0]
	v_pk_fma_f32 v[170:171], v[164:165], s[16:17], v[22:23] op_sel:[0,0,1] op_sel_hi:[1,0,0] neg_lo:[0,0,1] neg_hi:[0,0,1]
	v_mov_b32_e32 v22, v14
	v_mov_b32_e32 v23, v171
	v_pk_add_f32 v[18:19], v[22:23], v[18:19]
	v_pk_mul_f32 v[22:23], v[158:159], s[38:39] op_sel_hi:[1,0]
	v_mov_b32_e32 v127, v15
	v_pk_fma_f32 v[14:15], v[156:157], s[10:11], v[22:23] op_sel:[0,0,1] op_sel_hi:[1,0,0]
	v_mov_b32_e32 v25, v179
	v_pk_fma_f32 v[178:179], v[156:157], s[10:11], v[22:23] op_sel:[0,0,1] op_sel_hi:[1,0,0] neg_lo:[0,0,1] neg_hi:[0,0,1]
	v_mov_b32_e32 v22, v14
	v_mov_b32_e32 v23, v179
	v_pk_add_f32 v[18:19], v[22:23], v[18:19]
	v_pk_mul_f32 v[22:23], v[150:151], s[30:31] op_sel_hi:[1,0]
	v_mov_b32_e32 v131, v15
	v_pk_fma_f32 v[14:15], v[148:149], s[28:29], v[22:23] op_sel:[0,0,1] op_sel_hi:[1,0,0]
	v_pk_fma_f32 v[184:185], v[148:149], s[28:29], v[22:23] op_sel:[0,0,1] op_sel_hi:[1,0,0] neg_lo:[0,0,1] neg_hi:[0,0,1]
	v_mov_b32_e32 v22, v14
	v_mov_b32_e32 v23, v185
	v_pk_add_f32 v[18:19], v[22:23], v[18:19]
	ds_write2_b64 v105, v[12:13], v[18:19] offset0:2 offset1:3
	v_pk_mul_f32 v[12:13], v[198:199], s[38:39] op_sel_hi:[1,0]
	v_mov_b32_e32 v135, v15
	v_pk_fma_f32 v[14:15], v[194:195], s[10:11], v[12:13] op_sel:[0,0,1] op_sel_hi:[1,0,0]
	v_pk_fma_f32 v[202:203], v[194:195], s[10:11], v[12:13] op_sel:[0,0,1] op_sel_hi:[1,0,0] neg_lo:[0,0,1] neg_hi:[0,0,1]
	v_pk_mul_f32 v[18:19], v[196:197], s[36:37] op_sel_hi:[1,0]
	v_mov_b32_e32 v12, v14
	v_mov_b32_e32 v139, v15
	;; [unrolled: 1-line block ×3, first 2 shown]
	v_pk_fma_f32 v[14:15], v[192:193], s[34:35], v[18:19] op_sel:[0,0,1] op_sel_hi:[1,0,0]
	v_pk_fma_f32 v[206:207], v[192:193], s[34:35], v[18:19] op_sel:[0,0,1] op_sel_hi:[1,0,0] neg_lo:[0,0,1] neg_hi:[0,0,1]
	v_pk_add_f32 v[12:13], v[16:17], v[12:13]
	v_mov_b32_e32 v18, v14
	v_mov_b32_e32 v19, v207
	v_pk_add_f32 v[12:13], v[18:19], v[12:13]
	v_pk_mul_f32 v[18:19], v[190:191], s[50:51] op_sel_hi:[1,0]
	v_mov_b32_e32 v143, v15
	v_pk_fma_f32 v[14:15], v[188:189], s[18:19], v[18:19] op_sel:[0,0,1] op_sel_hi:[1,0,0]
	v_pk_fma_f32 v[210:211], v[188:189], s[18:19], v[18:19] op_sel:[0,0,1] op_sel_hi:[1,0,0] neg_lo:[0,0,1] neg_hi:[0,0,1]
	v_mov_b32_e32 v18, v14
	v_mov_b32_e32 v19, v211
	v_pk_add_f32 v[12:13], v[18:19], v[12:13]
	v_pk_mul_f32 v[18:19], v[186:187], s[44:45] op_sel_hi:[1,0]
	v_mov_b32_e32 v147, v15
	v_pk_fma_f32 v[14:15], v[180:181], s[16:17], v[18:19] op_sel:[0,0,1] op_sel_hi:[1,0,0]
	v_pk_fma_f32 v[214:215], v[180:181], s[16:17], v[18:19] op_sel:[0,0,1] op_sel_hi:[1,0,0] neg_lo:[0,0,1] neg_hi:[0,0,1]
	;; [unrolled: 7-line block ×4, first 2 shown]
	v_mov_b32_e32 v18, v14
	v_mov_b32_e32 v19, v223
	s_mov_b32 s52, 0x3f4c4adb
	v_pk_add_f32 v[12:13], v[18:19], v[12:13]
	v_pk_mul_f32 v[18:19], v[158:159], s[52:53] op_sel_hi:[1,0]
	v_mov_b32_e32 v171, v15
	v_pk_fma_f32 v[14:15], v[156:157], s[22:23], v[18:19] op_sel:[0,0,1] op_sel_hi:[1,0,0]
	v_pk_fma_f32 v[226:227], v[156:157], s[22:23], v[18:19] op_sel:[0,0,1] op_sel_hi:[1,0,0] neg_lo:[0,0,1] neg_hi:[0,0,1]
	v_mov_b32_e32 v18, v14
	v_mov_b32_e32 v19, v227
	v_pk_add_f32 v[12:13], v[18:19], v[12:13]
	v_pk_mul_f32 v[18:19], v[150:151], s[46:47] op_sel_hi:[1,0]
	v_mov_b32_e32 v179, v15
	v_pk_fma_f32 v[14:15], v[148:149], s[14:15], v[18:19] op_sel:[0,0,1] op_sel_hi:[1,0,0]
	v_pk_fma_f32 v[230:231], v[148:149], s[14:15], v[18:19] op_sel:[0,0,1] op_sel_hi:[1,0,0] neg_lo:[0,0,1] neg_hi:[0,0,1]
	v_mov_b32_e32 v18, v14
	v_mov_b32_e32 v19, v231
	v_pk_add_f32 v[46:47], v[18:19], v[12:13]
	v_pk_mul_f32 v[12:13], v[198:199], s[20:21] op_sel_hi:[1,0]
	v_mov_b32_e32 v185, v15
	v_pk_fma_f32 v[14:15], v[194:195], s[18:19], v[12:13] op_sel:[0,0,1] op_sel_hi:[1,0,0]
	v_pk_fma_f32 v[232:233], v[194:195], s[18:19], v[12:13] op_sel:[0,0,1] op_sel_hi:[1,0,0] neg_lo:[0,0,1] neg_hi:[0,0,1]
	v_pk_mul_f32 v[18:19], v[196:197], s[54:55] op_sel_hi:[1,0]
	v_mov_b32_e32 v12, v14
	v_mov_b32_e32 v203, v15
	;; [unrolled: 1-line block ×3, first 2 shown]
	v_pk_fma_f32 v[14:15], v[192:193], s[28:29], v[18:19] op_sel:[0,0,1] op_sel_hi:[1,0,0]
	v_pk_fma_f32 v[236:237], v[192:193], s[28:29], v[18:19] op_sel:[0,0,1] op_sel_hi:[1,0,0] neg_lo:[0,0,1] neg_hi:[0,0,1]
	v_pk_add_f32 v[12:13], v[16:17], v[12:13]
	v_mov_b32_e32 v18, v14
	v_mov_b32_e32 v19, v237
	v_pk_add_f32 v[12:13], v[18:19], v[12:13]
	v_pk_mul_f32 v[18:19], v[190:191], s[46:47] op_sel_hi:[1,0]
	v_mov_b32_e32 v207, v15
	v_pk_fma_f32 v[14:15], v[188:189], s[14:15], v[18:19] op_sel:[0,0,1] op_sel_hi:[1,0,0]
	v_pk_fma_f32 v[242:243], v[188:189], s[14:15], v[18:19] op_sel:[0,0,1] op_sel_hi:[1,0,0] neg_lo:[0,0,1] neg_hi:[0,0,1]
	v_mov_b32_e32 v18, v14
	v_mov_b32_e32 v19, v243
	v_pk_add_f32 v[12:13], v[18:19], v[12:13]
	v_pk_mul_f32 v[18:19], v[186:187], s[48:49] op_sel_hi:[1,0]
	v_mov_b32_e32 v211, v15
	v_pk_fma_f32 v[14:15], v[180:181], s[12:13], v[18:19] op_sel:[0,0,1] op_sel_hi:[1,0,0]
	v_pk_fma_f32 v[246:247], v[180:181], s[12:13], v[18:19] op_sel:[0,0,1] op_sel_hi:[1,0,0] neg_lo:[0,0,1] neg_hi:[0,0,1]
	;; [unrolled: 7-line block ×3, first 2 shown]
	v_mov_b32_e32 v18, v14
	v_mov_b32_e32 v19, v251
	s_mov_b32 s48, 0x3f7ee86f
	v_pk_add_f32 v[12:13], v[18:19], v[12:13]
	v_pk_mul_f32 v[18:19], v[166:167], s[48:49] op_sel_hi:[1,0]
	v_mov_b32_e32 v219, v15
	v_pk_fma_f32 v[14:15], v[164:165], s[10:11], v[18:19] op_sel:[0,0,1] op_sel_hi:[1,0,0]
	v_pk_fma_f32 v[254:255], v[164:165], s[10:11], v[18:19] op_sel:[0,0,1] op_sel_hi:[1,0,0] neg_lo:[0,0,1] neg_hi:[0,0,1]
	v_mov_b32_e32 v18, v14
	v_mov_b32_e32 v19, v255
	v_pk_add_f32 v[18:19], v[18:19], v[12:13]
	v_pk_mul_f32 v[12:13], v[158:159], s[26:27] op_sel_hi:[1,0]
	v_pk_mul_f32 v[204:205], v[196:197], s[50:51] op_sel_hi:[1,0]
	v_pk_fma_f32 v[132:133], v[156:157], s[16:17], v[12:13] op_sel:[0,0,1] op_sel_hi:[1,0,0]
	v_pk_fma_f32 v[12:13], v[156:157], s[16:17], v[12:13] op_sel:[0,0,1] op_sel_hi:[1,0,0] neg_lo:[0,0,1] neg_hi:[0,0,1]
	v_mov_b32_e32 v22, v132
	v_mov_b32_e32 v23, v13
	v_pk_add_f32 v[200:201], v[22:23], v[18:19]
	v_pk_mul_f32 v[18:19], v[150:151], s[24:25] op_sel_hi:[1,0]
	v_pk_fma_f32 v[120:121], v[192:193], s[18:19], v[204:205] op_sel:[0,0,1] op_sel_hi:[1,0,0]
	v_pk_fma_f32 v[128:129], v[148:149], s[22:23], v[18:19] op_sel:[0,0,1] op_sel_hi:[1,0,0]
	v_pk_fma_f32 v[18:19], v[148:149], s[22:23], v[18:19] op_sel:[0,0,1] op_sel_hi:[1,0,0] neg_lo:[0,0,1] neg_hi:[0,0,1]
	v_mov_b32_e32 v22, v128
	v_mov_b32_e32 v23, v19
	v_pk_add_f32 v[22:23], v[22:23], v[200:201]
	ds_write2_b64 v105, v[46:47], v[22:23] offset0:4 offset1:5
	v_pk_mul_f32 v[22:23], v[198:199], s[24:25] op_sel_hi:[1,0]
	v_pk_fma_f32 v[204:205], v[192:193], s[18:19], v[204:205] op_sel:[0,0,1] op_sel_hi:[1,0,0] neg_lo:[0,0,1] neg_hi:[0,0,1]
	v_pk_fma_f32 v[124:125], v[194:195], s[22:23], v[22:23] op_sel:[0,0,1] op_sel_hi:[1,0,0]
	v_pk_fma_f32 v[22:23], v[194:195], s[22:23], v[22:23] op_sel:[0,0,1] op_sel_hi:[1,0,0] neg_lo:[0,0,1] neg_hi:[0,0,1]
	v_mov_b32_e32 v200, v124
	v_mov_b32_e32 v201, v23
	v_pk_add_f32 v[200:201], v[16:17], v[200:201]
	v_mov_b32_e32 v26, v120
	v_mov_b32_e32 v27, v205
	v_pk_add_f32 v[26:27], v[26:27], v[200:201]
	v_pk_mul_f32 v[200:201], v[190:191], s[26:27] op_sel_hi:[1,0]
	v_mov_b32_e32 v13, v108
	v_pk_fma_f32 v[116:117], v[188:189], s[16:17], v[200:201] op_sel:[0,0,1] op_sel_hi:[1,0,0]
	v_pk_fma_f32 v[200:201], v[188:189], s[16:17], v[200:201] op_sel:[0,0,1] op_sel_hi:[1,0,0] neg_lo:[0,0,1] neg_hi:[0,0,1]
	v_mov_b32_e32 v208, v116
	v_mov_b32_e32 v209, v201
	v_pk_add_f32 v[26:27], v[208:209], v[26:27]
	v_pk_mul_f32 v[208:209], v[186:187], s[30:31] op_sel_hi:[1,0]
	v_mov_b32_e32 v33, v109
	v_pk_fma_f32 v[112:113], v[180:181], s[28:29], v[208:209] op_sel:[0,0,1] op_sel_hi:[1,0,0]
	v_pk_fma_f32 v[208:209], v[180:181], s[28:29], v[208:209] op_sel:[0,0,1] op_sel_hi:[1,0,0] neg_lo:[0,0,1] neg_hi:[0,0,1]
	v_mov_b32_e32 v216, v112
	v_mov_b32_e32 v217, v209
	v_pk_add_f32 v[26:27], v[216:217], v[26:27]
	v_pk_mul_f32 v[216:217], v[174:175], s[48:49] op_sel_hi:[1,0]
	v_pk_mul_f32 v[62:63], v[196:197], s[40:41] op_sel_hi:[1,0]
	v_pk_fma_f32 v[108:109], v[172:173], s[10:11], v[216:217] op_sel:[0,0,1] op_sel_hi:[1,0,0]
	v_pk_fma_f32 v[216:217], v[172:173], s[10:11], v[216:217] op_sel:[0,0,1] op_sel_hi:[1,0,0] neg_lo:[0,0,1] neg_hi:[0,0,1]
	v_mov_b32_e32 v224, v108
	v_mov_b32_e32 v225, v217
	v_pk_add_f32 v[26:27], v[224:225], v[26:27]
	v_pk_mul_f32 v[224:225], v[166:167], s[42:43] op_sel_hi:[1,0]
	v_mov_b32_e32 v223, v15
	v_pk_fma_f32 v[46:47], v[164:165], s[14:15], v[224:225] op_sel:[0,0,1] op_sel_hi:[1,0,0]
	v_pk_fma_f32 v[224:225], v[164:165], s[14:15], v[224:225] op_sel:[0,0,1] op_sel_hi:[1,0,0] neg_lo:[0,0,1] neg_hi:[0,0,1]
	v_mov_b32_e32 v234, v46
	v_mov_b32_e32 v235, v225
	v_pk_add_f32 v[26:27], v[234:235], v[26:27]
	v_pk_mul_f32 v[234:235], v[158:159], s[36:37] op_sel_hi:[1,0]
	v_pk_fma_f32 v[176:177], v[192:193], s[12:13], v[62:63] op_sel:[0,0,1] op_sel_hi:[1,0,0]
	v_pk_fma_f32 v[42:43], v[156:157], s[34:35], v[234:235] op_sel:[0,0,1] op_sel_hi:[1,0,0]
	v_pk_fma_f32 v[234:235], v[156:157], s[34:35], v[234:235] op_sel:[0,0,1] op_sel_hi:[1,0,0] neg_lo:[0,0,1] neg_hi:[0,0,1]
	v_mov_b32_e32 v240, v42
	v_mov_b32_e32 v241, v235
	v_pk_add_f32 v[26:27], v[240:241], v[26:27]
	v_pk_mul_f32 v[240:241], v[150:151], s[40:41] op_sel_hi:[1,0]
	v_pk_fma_f32 v[62:63], v[192:193], s[12:13], v[62:63] op_sel:[0,0,1] op_sel_hi:[1,0,0] neg_lo:[0,0,1] neg_hi:[0,0,1]
	v_pk_fma_f32 v[38:39], v[148:149], s[12:13], v[240:241] op_sel:[0,0,1] op_sel_hi:[1,0,0]
	v_pk_fma_f32 v[240:241], v[148:149], s[12:13], v[240:241] op_sel:[0,0,1] op_sel_hi:[1,0,0] neg_lo:[0,0,1] neg_hi:[0,0,1]
	v_mov_b32_e32 v248, v38
	v_mov_b32_e32 v249, v241
	v_pk_add_f32 v[26:27], v[248:249], v[26:27]
	v_pk_mul_f32 v[248:249], v[198:199], s[30:31] op_sel_hi:[1,0]
	v_mov_b32_e32 v182, v176
	v_pk_fma_f32 v[20:21], v[194:195], s[28:29], v[248:249] op_sel:[0,0,1] op_sel_hi:[1,0,0]
	v_pk_fma_f32 v[248:249], v[194:195], s[28:29], v[248:249] op_sel:[0,0,1] op_sel_hi:[1,0,0] neg_lo:[0,0,1] neg_hi:[0,0,1]
	v_mov_b32_e32 v14, v20
	v_mov_b32_e32 v15, v249
	v_pk_add_f32 v[14:15], v[16:17], v[14:15]
	v_mov_b32_e32 v183, v63
	v_pk_add_f32 v[14:15], v[182:183], v[14:15]
	v_pk_mul_f32 v[182:183], v[190:191], s[38:39] op_sel_hi:[1,0]
	v_mov_b32_e32 v108, v13
	v_mov_b32_e32 v13, v160
	;; [unrolled: 1-line block ×3, first 2 shown]
	v_pk_fma_f32 v[160:161], v[188:189], s[10:11], v[182:183] op_sel:[0,0,1] op_sel_hi:[1,0,0]
	v_pk_fma_f32 v[182:183], v[188:189], s[10:11], v[182:183] op_sel:[0,0,1] op_sel_hi:[1,0,0] neg_lo:[0,0,1] neg_hi:[0,0,1]
	v_mov_b32_e32 v168, v160
	v_mov_b32_e32 v169, v183
	v_pk_add_f32 v[14:15], v[168:169], v[14:15]
	v_pk_mul_f32 v[168:169], v[186:187], s[52:53] op_sel_hi:[1,0]
	v_pk_mul_f32 v[190:191], v[190:191], s[30:31] op_sel_hi:[1,0]
	v_pk_fma_f32 v[212:213], v[180:181], s[22:23], v[168:169] op_sel:[0,0,1] op_sel_hi:[1,0,0]
	v_pk_fma_f32 v[168:169], v[180:181], s[22:23], v[168:169] op_sel:[0,0,1] op_sel_hi:[1,0,0] neg_lo:[0,0,1] neg_hi:[0,0,1]
	v_mov_b32_e32 v152, v212
	v_mov_b32_e32 v153, v169
	v_pk_add_f32 v[14:15], v[152:153], v[14:15]
	v_pk_mul_f32 v[152:153], v[174:175], s[26:27] op_sel_hi:[1,0]
	v_pk_mul_f32 v[186:187], v[186:187], s[46:47] op_sel_hi:[1,0]
	;; [unrolled: 7-line block ×5, first 2 shown]
	v_pk_fma_f32 v[140:141], v[148:149], s[18:19], v[252:253] op_sel:[0,0,1] op_sel_hi:[1,0,0]
	v_pk_fma_f32 v[252:253], v[148:149], s[18:19], v[252:253] op_sel:[0,0,1] op_sel_hi:[1,0,0] neg_lo:[0,0,1] neg_hi:[0,0,1]
	v_mov_b32_e32 v144, v140
	v_mov_b32_e32 v145, v253
	v_pk_add_f32 v[14:15], v[144:145], v[14:15]
	ds_write2_b64 v105, v[26:27], v[14:15] offset0:6 offset1:7
	v_pk_mul_f32 v[14:15], v[198:199], s[36:37] op_sel_hi:[1,0]
	v_pk_mul_f32 v[144:145], v[196:197], s[44:45] op_sel_hi:[1,0]
	v_pk_fma_f32 v[26:27], v[194:195], s[34:35], v[14:15] op_sel:[0,0,1] op_sel_hi:[1,0,0]
	v_pk_fma_f32 v[14:15], v[194:195], s[34:35], v[14:15] op_sel:[0,0,1] op_sel_hi:[1,0,0] neg_lo:[0,0,1] neg_hi:[0,0,1]
	v_pk_fma_f32 v[194:195], v[192:193], s[16:17], v[144:145] op_sel:[0,0,1] op_sel_hi:[1,0,0]
	v_pk_fma_f32 v[144:145], v[192:193], s[16:17], v[144:145] op_sel:[0,0,1] op_sel_hi:[1,0,0] neg_lo:[0,0,1] neg_hi:[0,0,1]
	v_mov_b32_e32 v192, v26
	v_mov_b32_e32 v193, v15
	v_pk_add_f32 v[192:193], v[16:17], v[192:193]
	v_mov_b32_e32 v196, v194
	v_mov_b32_e32 v197, v145
	v_pk_add_f32 v[192:193], v[196:197], v[192:193]
	v_pk_fma_f32 v[196:197], v[188:189], s[28:29], v[190:191] op_sel:[0,0,1] op_sel_hi:[1,0,0]
	v_pk_fma_f32 v[188:189], v[188:189], s[28:29], v[190:191] op_sel:[0,0,1] op_sel_hi:[1,0,0] neg_lo:[0,0,1] neg_hi:[0,0,1]
	v_mov_b32_e32 v190, v196
	v_mov_b32_e32 v191, v189
	v_pk_add_f32 v[190:191], v[190:191], v[192:193]
	v_pk_fma_f32 v[192:193], v[180:181], s[14:15], v[186:187] op_sel:[0,0,1] op_sel_hi:[1,0,0]
	v_pk_fma_f32 v[180:181], v[180:181], s[14:15], v[186:187] op_sel:[0,0,1] op_sel_hi:[1,0,0] neg_lo:[0,0,1] neg_hi:[0,0,1]
	;; [unrolled: 5-line block ×3, first 2 shown]
	v_mov_b32_e32 v15, v27
	v_mov_b32_e32 v174, v190
	;; [unrolled: 1-line block ×4, first 2 shown]
	v_pk_add_f32 v[14:15], v[16:17], v[14:15]
	v_pk_add_f32 v[174:175], v[174:175], v[186:187]
	v_pk_fma_f32 v[186:187], v[164:165], s[12:13], v[166:167] op_sel:[0,0,1] op_sel_hi:[1,0,0]
	v_pk_fma_f32 v[164:165], v[164:165], s[12:13], v[166:167] op_sel:[0,0,1] op_sel_hi:[1,0,0] neg_lo:[0,0,1] neg_hi:[0,0,1]
	v_pk_add_f32 v[14:15], v[144:145], v[14:15]
	v_mov_b32_e32 v189, v197
	v_mov_b32_e32 v166, v186
	;; [unrolled: 1-line block ×3, first 2 shown]
	v_pk_add_f32 v[14:15], v[188:189], v[14:15]
	v_mov_b32_e32 v181, v193
	v_pk_add_f32 v[166:167], v[166:167], v[174:175]
	v_pk_fma_f32 v[174:175], v[156:157], s[18:19], v[158:159] op_sel:[0,0,1] op_sel_hi:[1,0,0]
	v_pk_fma_f32 v[156:157], v[156:157], s[18:19], v[158:159] op_sel:[0,0,1] op_sel_hi:[1,0,0] neg_lo:[0,0,1] neg_hi:[0,0,1]
	v_pk_add_f32 v[14:15], v[180:181], v[14:15]
	v_mov_b32_e32 v173, v191
	v_mov_b32_e32 v158, v174
	;; [unrolled: 1-line block ×3, first 2 shown]
	v_pk_mul_f32 v[150:151], v[150:151], s[48:49] op_sel_hi:[1,0]
	v_pk_add_f32 v[14:15], v[172:173], v[14:15]
	v_mov_b32_e32 v165, v187
	v_pk_add_f32 v[158:159], v[158:159], v[166:167]
	v_pk_fma_f32 v[166:167], v[148:149], s[10:11], v[150:151] op_sel:[0,0,1] op_sel_hi:[1,0,0]
	v_pk_fma_f32 v[148:149], v[148:149], s[10:11], v[150:151] op_sel:[0,0,1] op_sel_hi:[1,0,0] neg_lo:[0,0,1] neg_hi:[0,0,1]
	v_pk_add_f32 v[14:15], v[164:165], v[14:15]
	v_mov_b32_e32 v157, v175
	v_mov_b32_e32 v150, v166
	;; [unrolled: 1-line block ×3, first 2 shown]
	v_pk_add_f32 v[14:15], v[156:157], v[14:15]
	v_mov_b32_e32 v149, v167
	v_pk_add_f32 v[150:151], v[150:151], v[158:159]
	v_pk_add_f32 v[14:15], v[148:149], v[14:15]
	v_mov_b32_e32 v249, v21
	v_mov_b32_e32 v23, v125
	ds_write2_b64 v105, v[150:151], v[14:15] offset0:8 offset1:9
	v_mov_b32_e32 v63, v177
	v_pk_add_f32 v[14:15], v[16:17], v[248:249]
	v_mov_b32_e32 v205, v121
	v_pk_add_f32 v[20:21], v[16:17], v[22:23]
	v_pk_add_f32 v[14:15], v[62:63], v[14:15]
	v_mov_b32_e32 v183, v161
	v_pk_add_f32 v[20:21], v[204:205], v[20:21]
	v_mov_b32_e32 v201, v117
	v_pk_add_f32 v[14:15], v[182:183], v[14:15]
	v_mov_b32_e32 v169, v213
	v_pk_add_f32 v[20:21], v[200:201], v[20:21]
	v_mov_b32_e32 v209, v113
	v_pk_add_f32 v[14:15], v[168:169], v[14:15]
	v_mov_b32_e32 v153, v229
	v_pk_add_f32 v[20:21], v[208:209], v[20:21]
	v_mov_b32_e32 v217, v109
	v_pk_add_f32 v[14:15], v[152:153], v[14:15]
	v_mov_b32_e32 v221, v245
	v_pk_add_f32 v[20:21], v[216:217], v[20:21]
	v_mov_b32_e32 v225, v47
	v_pk_add_f32 v[14:15], v[220:221], v[14:15]
	v_mov_b32_e32 v239, v83
	v_pk_add_f32 v[20:21], v[224:225], v[20:21]
	v_mov_b32_e32 v235, v43
	v_pk_add_f32 v[14:15], v[238:239], v[14:15]
	v_mov_b32_e32 v253, v141
	v_pk_add_f32 v[20:21], v[234:235], v[20:21]
	v_mov_b32_e32 v241, v39
	v_pk_add_f32 v[14:15], v[252:253], v[14:15]
	v_pk_add_f32 v[20:21], v[240:241], v[20:21]
	v_mov_b32_e32 v233, v203
	ds_write2_b64 v105, v[14:15], v[20:21] offset0:10 offset1:11
	v_mov_b32_e32 v237, v207
	v_pk_add_f32 v[14:15], v[16:17], v[232:233]
	v_mov_b32_e32 v243, v211
	v_pk_add_f32 v[14:15], v[236:237], v[14:15]
	v_mov_b32_e32 v247, v215
	v_pk_add_f32 v[14:15], v[242:243], v[14:15]
	v_mov_b32_e32 v251, v219
	v_pk_add_f32 v[14:15], v[246:247], v[14:15]
	v_mov_b32_e32 v255, v223
	v_pk_add_f32 v[14:15], v[250:251], v[14:15]
	v_mov_b32_e32 v160, v13
	v_pk_add_f32 v[14:15], v[254:255], v[14:15]
	v_mov_b32_e32 v13, v133
	v_mov_b32_e32 v203, v139
	v_pk_add_f32 v[12:13], v[12:13], v[14:15]
	v_pk_add_f32 v[14:15], v[16:17], v[202:203]
	v_mov_b32_e32 v207, v143
	v_pk_add_f32 v[14:15], v[206:207], v[14:15]
	v_mov_b32_e32 v211, v147
	;; [unrolled: 2-line block ×6, first 2 shown]
	v_mov_b32_e32 v161, v19
	v_mov_b32_e32 v19, v129
	v_pk_add_f32 v[14:15], v[226:227], v[14:15]
	v_mov_b32_e32 v231, v185
	v_pk_add_f32 v[12:13], v[18:19], v[12:13]
	v_pk_add_f32 v[14:15], v[230:231], v[14:15]
	v_mov_b32_e32 v139, v107
	v_mov_b32_e32 v107, v37
	ds_write2_b64 v105, v[12:13], v[14:15] offset0:12 offset1:13
	v_pk_add_f32 v[12:13], v[16:17], v[138:139]
	v_mov_b32_e32 v143, v111
	v_pk_add_f32 v[14:15], v[16:17], v[106:107]
	v_mov_b32_e32 v111, v41
	;; [unrolled: 2-line block ×5, first 2 shown]
	v_pk_add_f32 v[14:15], v[114:115], v[14:15]
	v_accvgpr_read_b32 v119, a27
	v_pk_add_f32 v[12:13], v[154:155], v[12:13]
	v_mov_b32_e32 v163, v123
	v_pk_add_f32 v[14:15], v[118:119], v[14:15]
	v_accvgpr_read_b32 v123, a29
	v_pk_add_f32 v[12:13], v[162:163], v[12:13]
	v_mov_b32_e32 v171, v127
	;; [unrolled: 4-line block ×5, first 2 shown]
	v_pk_add_f32 v[14:15], v[134:135], v[14:15]
	v_accvgpr_read_b32 v35, a11
	v_mov_b32_e32 v163, v31
	ds_write2_b64 v105, v[12:13], v[14:15] offset0:14 offset1:15
	v_pk_add_f32 v[12:13], v[16:17], v[34:35]
	v_accvgpr_read_b32 v31, a13
	v_mov_b32_e32 v179, v25
	v_pk_add_f32 v[12:13], v[30:31], v[12:13]
	v_accvgpr_read_b32 v25, a15
	v_mov_b32_e32 v162, v29
	;; [unrolled: 3-line block ×3, first 2 shown]
	v_pk_add_f32 v[12:13], v[28:29], v[12:13]
	v_accvgpr_read_b32 v33, a19
	v_pk_add_f32 v[12:13], v[32:33], v[12:13]
	v_accvgpr_read_b32 v37, a21
	;; [unrolled: 2-line block ×3, first 2 shown]
	v_accvgpr_read_b32 v157, a5
	v_pk_add_f32 v[12:13], v[40:41], v[12:13]
	v_accvgpr_read_b32 v67, a25
	v_accvgpr_read_b32 v186, a0
	;; [unrolled: 1-line block ×10, first 2 shown]
	v_pk_add_f32 v[12:13], v[66:67], v[12:13]
	ds_write_b64 v105, v[12:13] offset:128
.LBB0_13:
	s_or_b64 exec, exec, s[0:1]
	v_add_u32_e32 v105, 0x800, v45
	s_waitcnt lgkmcnt(0)
	s_barrier
	ds_read2_b64 v[12:15], v105 offset0:152 offset1:186
	ds_read2_b64 v[16:19], v45 offset0:204 offset1:238
	s_mov_b32 s10, 0x3f08b237
	s_mov_b32 s20, 0x3d64c772
	;; [unrolled: 1-line block ×3, first 2 shown]
	s_waitcnt lgkmcnt(1)
	v_pk_mul_f32 v[20:21], v[64:65], v[14:15]
	v_pk_mul_f32 v[24:25], v[60:61], v[12:13]
	v_pk_fma_f32 v[22:23], v[102:103], v[14:15], v[20:21] op_sel:[0,0,1] op_sel_hi:[1,1,0]
	v_pk_fma_f32 v[14:15], v[102:103], v[14:15], v[20:21] op_sel:[0,0,1] op_sel_hi:[1,1,0] neg_lo:[0,0,1] neg_hi:[0,0,1]
	v_pk_fma_f32 v[30:31], v[100:101], v[12:13], v[24:25] op_sel:[0,0,1] op_sel_hi:[1,1,0]
	v_mov_b32_e32 v23, v15
	s_waitcnt lgkmcnt(0)
	v_pk_add_f32 v[26:27], v[16:17], v[22:23] neg_lo:[0,1] neg_hi:[0,1]
	ds_read2_b64 v[20:23], v105 offset0:84 offset1:118
	v_pk_fma_f32 v[28:29], v[16:17], 2.0, v[26:27] op_sel_hi:[1,0,1] neg_lo:[0,0,1] neg_hi:[0,0,1]
	ds_read2_b64 v[14:17], v45 offset0:136 offset1:170
	v_pk_fma_f32 v[12:13], v[100:101], v[12:13], v[24:25] op_sel:[0,0,1] op_sel_hi:[1,1,0] neg_lo:[0,0,1] neg_hi:[0,0,1]
	s_mov_b32 s21, 0x3f4a47b2
	v_mov_b32_e32 v31, v13
	s_waitcnt lgkmcnt(1)
	v_pk_mul_f32 v[12:13], v[56:57], v[22:23]
	v_pk_mul_f32 v[36:37], v[58:59], v[20:21]
	v_pk_fma_f32 v[24:25], v[98:99], v[22:23], v[12:13] op_sel:[0,0,1] op_sel_hi:[1,1,0]
	v_pk_fma_f32 v[12:13], v[98:99], v[22:23], v[12:13] op_sel:[0,0,1] op_sel_hi:[1,1,0] neg_lo:[0,0,1] neg_hi:[0,0,1]
	v_pk_fma_f32 v[38:39], v[96:97], v[20:21], v[36:37] op_sel:[0,0,1] op_sel_hi:[1,1,0]
	v_mov_b32_e32 v25, v13
	s_waitcnt lgkmcnt(0)
	v_pk_add_f32 v[32:33], v[14:15], v[24:25] neg_lo:[0,1] neg_hi:[0,1]
	ds_read2_b64 v[22:25], v105 offset0:16 offset1:50
	v_pk_fma_f32 v[34:35], v[14:15], 2.0, v[32:33] op_sel_hi:[1,0,1] neg_lo:[0,0,1] neg_hi:[0,0,1]
	ds_read2_b64 v[12:15], v45 offset0:68 offset1:102
	v_pk_fma_f32 v[20:21], v[96:97], v[20:21], v[36:37] op_sel:[0,0,1] op_sel_hi:[1,1,0] neg_lo:[0,0,1] neg_hi:[0,0,1]
	v_pk_add_f32 v[30:31], v[16:17], v[30:31] neg_lo:[0,1] neg_hi:[0,1]
	v_mov_b32_e32 v39, v21
	s_waitcnt lgkmcnt(1)
	v_pk_mul_f32 v[40:41], v[52:53], v[22:23]
	s_waitcnt lgkmcnt(0)
	v_pk_add_f32 v[20:21], v[14:15], v[38:39] neg_lo:[0,1] neg_hi:[0,1]
	v_pk_fma_f32 v[42:43], v[92:93], v[22:23], v[40:41] op_sel:[0,0,1] op_sel_hi:[1,1,0]
	v_pk_fma_f32 v[36:37], v[14:15], 2.0, v[20:21] op_sel_hi:[1,0,1] neg_lo:[0,0,1] neg_hi:[0,0,1]
	v_pk_mul_f32 v[14:15], v[54:55], v[24:25]
	v_pk_fma_f32 v[22:23], v[92:93], v[22:23], v[40:41] op_sel:[0,0,1] op_sel_hi:[1,1,0] neg_lo:[0,0,1] neg_hi:[0,0,1]
	v_pk_fma_f32 v[38:39], v[94:95], v[24:25], v[14:15] op_sel:[0,0,1] op_sel_hi:[1,1,0]
	v_pk_fma_f32 v[14:15], v[94:95], v[24:25], v[14:15] op_sel:[0,0,1] op_sel_hi:[1,1,0] neg_lo:[0,0,1] neg_hi:[0,0,1]
	v_mov_b32_e32 v43, v23
	v_mov_b32_e32 v39, v15
	v_pk_add_f32 v[24:25], v[12:13], v[38:39] neg_lo:[0,1] neg_hi:[0,1]
	v_pk_mul_f32 v[40:41], v[50:51], v[18:19]
	v_pk_fma_f32 v[38:39], v[12:13], 2.0, v[24:25] op_sel_hi:[1,0,1] neg_lo:[0,0,1] neg_hi:[0,0,1]
	ds_read2_b64 v[12:15], v45 offset1:34
	v_pk_fma_f32 v[16:17], v[16:17], 2.0, v[30:31] op_sel_hi:[1,0,1] neg_lo:[0,0,1] neg_hi:[0,0,1]
	s_waitcnt lgkmcnt(0)
	s_barrier
	v_pk_add_f32 v[22:23], v[14:15], v[42:43] neg_lo:[0,1] neg_hi:[0,1]
	v_pk_fma_f32 v[42:43], v[90:91], v[18:19], v[40:41] op_sel:[0,0,1] op_sel_hi:[1,1,0]
	v_pk_fma_f32 v[18:19], v[90:91], v[18:19], v[40:41] op_sel:[0,0,1] op_sel_hi:[1,1,0] neg_lo:[0,0,1] neg_hi:[0,0,1]
	v_pk_fma_f32 v[14:15], v[14:15], 2.0, v[22:23] op_sel_hi:[1,0,1] neg_lo:[0,0,1] neg_hi:[0,0,1]
	v_mov_b32_e32 v43, v19
	v_pk_add_f32 v[18:19], v[12:13], v[42:43] neg_lo:[0,1] neg_hi:[0,1]
	s_mov_b32 s14, s11
	v_pk_fma_f32 v[12:13], v[12:13], 2.0, v[18:19] op_sel_hi:[1,0,1] neg_lo:[0,0,1] neg_hi:[0,0,1]
	ds_write2_b64 v158, v[12:13], v[18:19] offset1:17
	ds_write2_b64 v164, v[14:15], v[22:23] offset1:17
	;; [unrolled: 1-line block ×7, first 2 shown]
	s_waitcnt lgkmcnt(0)
	s_barrier
	ds_read2_b64 v[16:19], v45 offset0:68 offset1:102
	ds_read2_b64 v[20:23], v45 offset0:204 offset1:238
	;; [unrolled: 1-line block ×6, first 2 shown]
	v_mov_b32_e32 v12, v1
	s_waitcnt lgkmcnt(4)
	v_pk_mul_f32 v[50:51], v[12:13], v[20:21] op_sel:[0,1] op_sel_hi:[1,0]
	v_pk_mul_f32 v[12:13], v[0:1], v[20:21] op_sel:[0,1] op_sel_hi:[1,0]
	v_pk_mul_f32 v[46:47], v[0:1], v[20:21]
	v_mov_b32_e32 v12, v13
	v_pk_fma_f32 v[20:21], v[0:1], v[20:21], v[12:13] op_sel:[0,1,0] op_sel_hi:[1,0,1] neg_lo:[0,0,1] neg_hi:[0,0,1]
	v_mov_b32_e32 v12, v3
	s_waitcnt lgkmcnt(0)
	v_pk_mul_f32 v[54:55], v[12:13], v[36:37] op_sel:[0,1] op_sel_hi:[1,0]
	v_pk_mul_f32 v[12:13], v[2:3], v[36:37] op_sel:[0,1] op_sel_hi:[1,0]
	v_pk_mul_f32 v[52:53], v[2:3], v[36:37]
	v_mov_b32_e32 v12, v13
	v_pk_fma_f32 v[36:37], v[2:3], v[36:37], v[12:13] op_sel:[0,1,0] op_sel_hi:[1,0,1] neg_lo:[0,0,1] neg_hi:[0,0,1]
	v_mul_f32_e32 v12, v9, v18
	v_fma_f32 v56, v8, v19, -v12
	v_mul_f32_e32 v12, v7, v34
	v_fma_f32 v62, v6, v35, -v12
	v_add_f32_e32 v13, v56, v62
	v_mov_b32_e32 v12, v17
	v_pk_mul_f32 v[64:65], v[8:9], v[16:17] op_sel_hi:[1,0]
	ds_read2_b64 v[40:43], v45 offset1:34
	v_pk_fma_f32 v[66:67], v[8:9], v[12:13], v[64:65] op_sel:[0,0,1] op_sel_hi:[1,1,0] neg_lo:[0,0,1] neg_hi:[0,0,1]
	v_pk_fma_f32 v[16:17], v[8:9], v[16:17], v[64:65] op_sel:[0,1,1] op_sel_hi:[1,1,0]
	v_mov_b32_e32 v8, v25
	v_mov_b32_e32 v67, v17
	v_pk_mul_f32 v[16:17], v[10:11], v[24:25] op_sel_hi:[1,0]
	v_mov_b32_e32 v53, v66
	v_pk_fma_f32 v[64:65], v[10:11], v[8:9], v[16:17] op_sel:[0,0,1] op_sel_hi:[1,1,0] neg_lo:[0,0,1] neg_hi:[0,0,1]
	v_pk_fma_f32 v[16:17], v[10:11], v[24:25], v[16:17] op_sel:[0,1,1] op_sel_hi:[1,1,0]
	v_mov_b32_e32 v8, v29
	v_mov_b32_e32 v65, v17
	v_pk_mul_f32 v[16:17], v[4:5], v[28:29] op_sel_hi:[1,0]
	v_mov_b32_e32 v47, v64
	;; [unrolled: 6-line block ×3, first 2 shown]
	v_pk_fma_f32 v[28:29], v[6:7], v[8:9], v[16:17] op_sel:[0,0,1] op_sel_hi:[1,1,0] neg_lo:[0,0,1] neg_hi:[0,0,1]
	v_pk_fma_f32 v[16:17], v[6:7], v[32:33], v[16:17] op_sel:[0,1,1] op_sel_hi:[1,1,0]
	v_mov_b32_e32 v55, v28
	v_mov_b32_e32 v29, v17
	v_pk_add_f32 v[16:17], v[66:67], v[28:29]
	v_pk_add_f32 v[32:33], v[66:67], v[28:29] neg_lo:[0,1] neg_hi:[0,1]
	v_pk_add_f32 v[82:83], v[64:65], v[24:25]
	v_pk_add_f32 v[90:91], v[64:65], v[24:25] neg_lo:[0,1] neg_hi:[0,1]
	v_pk_add_f32 v[28:29], v[52:53], v[54:55]
	v_pk_add_f32 v[24:25], v[46:47], v[50:51]
	v_mov_b32_e32 v37, v28
	v_mov_b32_e32 v21, v24
	v_pk_add_f32 v[46:47], v[36:37], v[20:21] neg_lo:[0,1] neg_hi:[0,1]
	v_mov_b32_e32 v64, v83
	v_mov_b32_e32 v65, v20
	;; [unrolled: 1-line block ×8, first 2 shown]
	v_pk_add_f32 v[20:21], v[64:65], v[20:21]
	v_pk_add_f32 v[36:37], v[24:25], v[28:29]
	v_pk_add_f32 v[50:51], v[50:51], v[52:53] neg_lo:[0,1] neg_hi:[0,1]
	v_mov_b32_e32 v52, v32
	v_mov_b32_e32 v54, v46
	;; [unrolled: 1-line block ×8, first 2 shown]
	v_pk_add_f32 v[52:53], v[52:53], v[54:55] neg_lo:[0,1] neg_hi:[0,1]
	s_mov_b32 s15, s10
	v_pk_add_f32 v[64:65], v[28:29], v[64:65] neg_lo:[0,1] neg_hi:[0,1]
	v_pk_add_f32 v[66:67], v[66:67], v[24:25] neg_lo:[0,1] neg_hi:[0,1]
	v_pk_add_f32 v[20:21], v[20:21], v[36:37]
	s_mov_b32 s22, s21
	s_mov_b32 s23, s20
	v_pk_mul_f32 v[50:51], v[50:51], s[10:11]
	v_pk_mul_f32 v[54:55], v[52:53], s[14:15]
	v_pk_add_f32 v[46:47], v[46:47], v[90:91]
	s_waitcnt lgkmcnt(0)
	v_pk_add_f32 v[36:37], v[40:41], v[20:21]
	v_pk_mul_f32 v[40:41], v[64:65], s[20:21]
	v_pk_mul_f32 v[64:65], v[66:67], s[22:23]
	v_mov_b32_e32 v24, v83
	v_mov_b32_e32 v28, v17
	v_pk_add_f32 v[46:47], v[46:47], v[32:33]
	s_mov_b32 s18, 0x3f955555
	v_pk_add_f32 v[32:33], v[90:91], v[32:33] neg_lo:[0,1] neg_hi:[0,1]
	s_mov_b32 s12, 0xbf5ff5aa
	v_pk_add_f32 v[16:17], v[24:25], v[28:29] neg_lo:[0,1] neg_hi:[0,1]
	s_mov_b32 s16, 0x3f3bfb3b
	v_mov_b32_e32 v24, v64
	v_mov_b32_e32 v25, v41
	;; [unrolled: 1-line block ×4, first 2 shown]
	s_mov_b32 s0, 0xbee1c552
	v_pk_fma_f32 v[20:21], v[20:21], s[18:19], v[36:37] op_sel_hi:[1,0,1] neg_lo:[1,0,0] neg_hi:[1,0,0]
	v_pk_fma_f32 v[66:67], v[66:67], s[22:23], v[40:41]
	v_pk_fma_f32 v[52:53], v[52:53], s[14:15], v[50:51]
	v_pk_fma_f32 v[24:25], v[16:17], s[16:17], v[24:25] op_sel_hi:[1,0,1] neg_lo:[1,0,1] neg_hi:[1,0,1]
	v_pk_fma_f32 v[28:29], v[32:33], s[12:13], v[28:29] op_sel_hi:[1,0,1] neg_lo:[1,0,1] neg_hi:[1,0,1]
	v_pk_add_f32 v[66:67], v[66:67], v[20:21]
	v_pk_fma_f32 v[52:53], v[46:47], s[0:1], v[52:53] op_sel_hi:[1,0,1]
	v_pk_add_f32 v[24:25], v[24:25], v[20:21]
	v_pk_fma_f32 v[28:29], v[46:47], s[0:1], v[28:29] op_sel_hi:[1,0,1]
	v_mov_b32_e32 v41, v65
	v_mov_b32_e32 v51, v55
	v_pk_add_f32 v[92:93], v[66:67], v[52:53]
	v_pk_add_f32 v[52:53], v[66:67], v[52:53] neg_lo:[0,1] neg_hi:[0,1]
	v_pk_add_f32 v[66:67], v[24:25], v[28:29]
	v_pk_add_f32 v[24:25], v[24:25], v[28:29] neg_lo:[0,1] neg_hi:[0,1]
	v_pk_fma_f32 v[16:17], v[16:17], s[16:17], v[40:41] op_sel_hi:[1,0,1] neg_lo:[0,0,1] neg_hi:[0,0,1]
	v_pk_fma_f32 v[28:29], v[32:33], s[12:13], v[50:51] op_sel_hi:[1,0,1] neg_lo:[0,0,1] neg_hi:[0,0,1]
	v_mul_f32_e32 v59, v11, v27
	v_pk_add_f32 v[16:17], v[16:17], v[20:21]
	v_pk_fma_f32 v[20:21], v[46:47], s[0:1], v[28:29] op_sel_hi:[1,0,1]
	v_fmac_f32_e32 v59, v10, v26
	v_pk_add_f32 v[28:29], v[16:17], v[20:21] neg_lo:[0,1] neg_hi:[0,1]
	v_pk_add_f32 v[16:17], v[16:17], v[20:21]
	v_mov_b32_e32 v21, v10
	v_mov_b32_e32 v10, v1
	;; [unrolled: 1-line block ×4, first 2 shown]
	v_mul_f32_e32 v61, v5, v31
	v_mov_b32_e32 v20, v0
	v_mov_b32_e32 v32, v22
	;; [unrolled: 1-line block ×3, first 2 shown]
	v_pk_mul_f32 v[10:11], v[10:11], v[40:41]
	v_fmac_f32_e32 v61, v4, v30
	v_pk_fma_f32 v[26:27], v[0:1], v[22:23], v[10:11]
	v_pk_fma_f32 v[10:11], v[20:21], v[32:33], v[10:11] neg_lo:[0,0,1] neg_hi:[0,0,1]
	v_mov_b32_e32 v21, v23
	v_mov_b32_e32 v0, v9
	;; [unrolled: 1-line block ×9, first 2 shown]
	v_pk_mul_f32 v[0:1], v[0:1], v[8:9]
	v_pk_mul_f32 v[4:5], v[4:5], v[22:23]
	v_pk_fma_f32 v[8:9], v[48:49], v[20:21], v[0:1]
	v_pk_fma_f32 v[0:1], v[48:49], v[20:21], v[0:1] neg_lo:[0,0,1] neg_hi:[0,0,1]
	v_mov_b32_e32 v18, v2
	v_mov_b32_e32 v20, v38
	;; [unrolled: 1-line block ×3, first 2 shown]
	v_pk_fma_f32 v[22:23], v[2:3], v[38:39], v[4:5]
	v_mov_b32_e32 v2, v7
	v_mov_b32_e32 v6, v35
	;; [unrolled: 1-line block ×3, first 2 shown]
	v_pk_fma_f32 v[4:5], v[18:19], v[20:21], v[4:5] neg_lo:[0,0,1] neg_hi:[0,0,1]
	v_mov_b32_e32 v18, v34
	v_mov_b32_e32 v19, v39
	v_pk_mul_f32 v[2:3], v[2:3], v[6:7]
	v_mov_b32_e32 v27, v11
	v_pk_fma_f32 v[6:7], v[156:157], v[18:19], v[2:3]
	v_pk_fma_f32 v[2:3], v[156:157], v[18:19], v[2:3] neg_lo:[0,0,1] neg_hi:[0,0,1]
	v_mov_b32_e32 v9, v1
	v_mov_b32_e32 v23, v5
	;; [unrolled: 1-line block ×3, first 2 shown]
	v_add_f32_e32 v14, v59, v61
	v_mov_b32_e32 v57, v8
	v_mov_b32_e32 v63, v6
	;; [unrolled: 1-line block ×4, first 2 shown]
	v_pk_add_f32 v[10:11], v[26:27], v[22:23]
	v_pk_add_f32 v[6:7], v[8:9], v[6:7]
	v_mov_b32_e32 v2, v3
	v_mov_b32_e32 v3, v22
	;; [unrolled: 1-line block ×4, first 2 shown]
	v_pk_add_f32 v[18:19], v[56:57], v[62:63] neg_lo:[0,1] neg_hi:[0,1]
	v_pk_add_f32 v[4:5], v[58:59], v[60:61] neg_lo:[0,1] neg_hi:[0,1]
	;; [unrolled: 1-line block ×3, first 2 shown]
	v_mov_b32_e32 v15, v11
	v_mov_b32_e32 v12, v6
	;; [unrolled: 1-line block ×6, first 2 shown]
	v_pk_add_f32 v[2:3], v[14:15], v[12:13]
	v_pk_add_f32 v[8:9], v[8:9], v[20:21] neg_lo:[0,1] neg_hi:[0,1]
	v_pk_add_f32 v[20:21], v[6:7], v[10:11] neg_lo:[0,1] neg_hi:[0,1]
	v_mov_b32_e32 v26, v0
	v_mov_b32_e32 v27, v19
	v_mov_b32_e32 v30, v4
	v_mov_b32_e32 v31, v1
	v_mov_b32_e32 v11, v7
	v_pk_add_f32 v[22:23], v[0:1], v[4:5]
	v_pk_add_f32 v[26:27], v[26:27], v[30:31] neg_lo:[0,1] neg_hi:[0,1]
	v_mov_b32_e32 v30, v18
	v_mov_b32_e32 v1, v5
	v_pk_add_f32 v[2:3], v[10:11], v[2:3]
	v_pk_add_f32 v[0:1], v[30:31], v[0:1] neg_lo:[0,1] neg_hi:[0,1]
	v_pk_add_f32 v[10:11], v[42:43], v[2:3]
	v_pk_mul_f32 v[8:9], v[8:9], s[20:21]
	v_pk_mul_f32 v[26:27], v[26:27], s[10:11]
	v_pk_add_f32 v[6:7], v[22:23], v[18:19]
	v_pk_mul_f32 v[22:23], v[20:21], s[22:23]
	v_pk_mul_f32 v[30:31], v[0:1], s[14:15]
	v_pk_fma_f32 v[2:3], v[2:3], s[18:19], v[10:11] op_sel_hi:[1,0,1] neg_lo:[1,0,0] neg_hi:[1,0,0]
	v_pk_fma_f32 v[20:21], v[20:21], s[22:23], v[8:9]
	v_pk_fma_f32 v[0:1], v[0:1], s[14:15], v[26:27]
	v_pk_add_f32 v[20:21], v[20:21], v[2:3]
	v_pk_fma_f32 v[0:1], v[6:7], s[0:1], v[0:1] op_sel_hi:[1,0,1]
	s_nop 0
	v_pk_add_f32 v[32:33], v[20:21], v[0:1] neg_lo:[0,1] neg_hi:[0,1]
	v_pk_add_f32 v[0:1], v[20:21], v[0:1]
	v_mov_b32_e32 v20, v92
	v_mov_b32_e32 v21, v53
	s_barrier
	ds_write2_b64 v45, v[36:37], v[20:21] offset1:34
	v_mov_b32_e32 v21, v25
	v_mov_b32_e32 v35, v17
	;; [unrolled: 1-line block ×4, first 2 shown]
	ds_write2_b64 v45, v[16:17], v[24:25] offset0:136 offset1:170
	v_pk_add_f32 v[12:13], v[14:15], v[12:13] neg_lo:[0,1] neg_hi:[0,1]
	v_pk_add_f32 v[4:5], v[4:5], v[18:19] neg_lo:[0,1] neg_hi:[0,1]
	v_mov_b32_e32 v14, v22
	v_mov_b32_e32 v15, v9
	;; [unrolled: 1-line block ×6, first 2 shown]
	v_pk_fma_f32 v[14:15], v[12:13], s[16:17], v[14:15] op_sel_hi:[1,0,1] neg_lo:[1,0,1] neg_hi:[1,0,1]
	v_pk_fma_f32 v[16:17], v[4:5], s[12:13], v[16:17] op_sel_hi:[1,0,1] neg_lo:[1,0,1] neg_hi:[1,0,1]
	v_pk_fma_f32 v[8:9], v[12:13], s[16:17], v[8:9] op_sel_hi:[1,0,1] neg_lo:[0,0,1] neg_hi:[0,0,1]
	v_pk_fma_f32 v[4:5], v[4:5], s[12:13], v[26:27] op_sel_hi:[1,0,1] neg_lo:[0,0,1] neg_hi:[0,0,1]
	v_pk_add_f32 v[14:15], v[14:15], v[2:3]
	v_pk_fma_f32 v[16:17], v[6:7], s[0:1], v[16:17] op_sel_hi:[1,0,1]
	v_pk_add_f32 v[2:3], v[8:9], v[2:3]
	v_pk_fma_f32 v[4:5], v[6:7], s[0:1], v[4:5] op_sel_hi:[1,0,1]
	v_mov_b32_e32 v53, v93
	v_pk_add_f32 v[18:19], v[14:15], v[16:17] neg_lo:[0,1] neg_hi:[0,1]
	v_pk_add_f32 v[14:15], v[14:15], v[16:17]
	v_pk_add_f32 v[6:7], v[2:3], v[4:5]
	v_pk_add_f32 v[2:3], v[2:3], v[4:5] neg_lo:[0,1] neg_hi:[0,1]
	v_mov_b32_e32 v20, v66
	v_mov_b32_e32 v34, v28
	ds_write2_b64 v45, v[52:53], v[10:11] offset0:204 offset1:238
	v_mov_b32_e32 v10, v0
	v_mov_b32_e32 v11, v33
	;; [unrolled: 1-line block ×9, first 2 shown]
	ds_write2_b64 v45, v[20:21], v[34:35] offset0:68 offset1:102
	ds_write2_b64 v105, v[10:11], v[16:17] offset0:16 offset1:50
	;; [unrolled: 1-line block ×4, first 2 shown]
	s_waitcnt lgkmcnt(0)
	s_barrier
	ds_read2_b64 v[0:3], v45 offset0:204 offset1:238
	ds_read2_b64 v[4:7], v45 offset1:34
	ds_read2_b64 v[8:11], v105 offset0:16 offset1:50
	s_waitcnt lgkmcnt(2)
	v_pk_mul_f32 v[12:13], v[76:77], v[2:3] op_sel:[1,0]
	s_nop 0
	v_pk_fma_f32 v[14:15], v[76:77], v[2:3], v[12:13] op_sel:[0,0,1] op_sel_hi:[1,1,0]
	v_pk_fma_f32 v[2:3], v[76:77], v[2:3], v[12:13] op_sel:[0,0,1] op_sel_hi:[0,1,0] neg_lo:[0,0,1] neg_hi:[0,0,1]
	v_mov_b32_e32 v15, v3
	s_waitcnt lgkmcnt(1)
	v_pk_add_f32 v[14:15], v[4:5], v[14:15] neg_lo:[0,1] neg_hi:[0,1]
	s_waitcnt lgkmcnt(0)
	v_pk_mul_f32 v[2:3], v[78:79], v[8:9] op_sel:[1,0]
	v_pk_fma_f32 v[16:17], v[4:5], 2.0, v[14:15] op_sel_hi:[1,0,1] neg_lo:[0,0,1] neg_hi:[0,0,1]
	v_pk_fma_f32 v[4:5], v[78:79], v[8:9], v[2:3] op_sel:[0,0,1] op_sel_hi:[1,1,0]
	v_pk_fma_f32 v[2:3], v[78:79], v[8:9], v[2:3] op_sel:[0,0,1] op_sel_hi:[0,1,0] neg_lo:[0,0,1] neg_hi:[0,0,1]
	v_mov_b32_e32 v5, v3
	v_pk_add_f32 v[18:19], v[6:7], v[4:5] neg_lo:[0,1] neg_hi:[0,1]
	ds_read2_b64 v[2:5], v45 offset0:68 offset1:102
	v_pk_fma_f32 v[20:21], v[6:7], 2.0, v[18:19] op_sel_hi:[1,0,1] neg_lo:[0,0,1] neg_hi:[0,0,1]
	ds_read2_b64 v[6:9], v105 offset0:84 offset1:118
	v_pk_mul_f32 v[12:13], v[80:81], v[10:11]
	s_waitcnt lgkmcnt(0)
	v_pk_mul_f32 v[28:29], v[70:71], v[8:9] op_sel:[1,0]
	v_pk_fma_f32 v[22:23], v[88:89], v[10:11], v[12:13] op_sel:[0,0,1] op_sel_hi:[1,1,0]
	v_pk_fma_f32 v[10:11], v[88:89], v[10:11], v[12:13] op_sel:[0,0,1] op_sel_hi:[1,1,0] neg_lo:[0,0,1] neg_hi:[0,0,1]
	v_pk_fma_f32 v[30:31], v[70:71], v[8:9], v[28:29] op_sel:[0,0,1] op_sel_hi:[1,1,0]
	v_mov_b32_e32 v23, v11
	v_pk_add_f32 v[22:23], v[2:3], v[22:23] neg_lo:[0,1] neg_hi:[0,1]
	v_pk_fma_f32 v[8:9], v[70:71], v[8:9], v[28:29] op_sel:[0,0,1] op_sel_hi:[0,1,0] neg_lo:[0,0,1] neg_hi:[0,0,1]
	v_pk_fma_f32 v[24:25], v[2:3], 2.0, v[22:23] op_sel_hi:[1,0,1] neg_lo:[0,0,1] neg_hi:[0,0,1]
	v_pk_mul_f32 v[2:3], v[74:75], v[6:7]
	v_mov_b32_e32 v31, v9
	v_pk_fma_f32 v[10:11], v[86:87], v[6:7], v[2:3] op_sel:[0,0,1] op_sel_hi:[1,1,0]
	v_pk_fma_f32 v[2:3], v[86:87], v[6:7], v[2:3] op_sel:[0,0,1] op_sel_hi:[1,1,0] neg_lo:[0,0,1] neg_hi:[0,0,1]
	s_nop 0
	v_mov_b32_e32 v11, v3
	v_pk_add_f32 v[6:7], v[4:5], v[10:11] neg_lo:[0,1] neg_hi:[0,1]
	ds_read2_b64 v[10:13], v105 offset0:152 offset1:186
	v_pk_fma_f32 v[26:27], v[4:5], 2.0, v[6:7] op_sel_hi:[1,0,1] neg_lo:[0,0,1] neg_hi:[0,0,1]
	ds_read2_b64 v[2:5], v45 offset0:136 offset1:170
	ds_write2_b64 v104, v[16:17], v[20:21] offset1:34
	v_add_u32_e32 v16, 0x400, v104
	s_waitcnt lgkmcnt(2)
	v_pk_mul_f32 v[28:29], v[72:73], v[10:11]
	s_waitcnt lgkmcnt(1)
	v_pk_add_f32 v[8:9], v[2:3], v[30:31] neg_lo:[0,1] neg_hi:[0,1]
	v_pk_fma_f32 v[30:31], v[84:85], v[10:11], v[28:29] op_sel:[0,0,1] op_sel_hi:[1,1,0]
	v_pk_fma_f32 v[10:11], v[84:85], v[10:11], v[28:29] op_sel:[0,0,1] op_sel_hi:[1,1,0] neg_lo:[0,0,1] neg_hi:[0,0,1]
	v_pk_mul_f32 v[28:29], v[68:69], v[12:13]
	v_mov_b32_e32 v31, v11
	v_pk_add_f32 v[10:11], v[4:5], v[30:31] neg_lo:[0,1] neg_hi:[0,1]
	v_pk_fma_f32 v[30:31], v[136:137], v[12:13], v[28:29] op_sel:[0,0,1] op_sel_hi:[1,1,0]
	v_pk_fma_f32 v[12:13], v[136:137], v[12:13], v[28:29] op_sel:[0,0,1] op_sel_hi:[1,1,0] neg_lo:[0,0,1] neg_hi:[0,0,1]
	v_pk_fma_f32 v[2:3], v[2:3], 2.0, v[8:9] op_sel_hi:[1,0,1] neg_lo:[0,0,1] neg_hi:[0,0,1]
	v_mov_b32_e32 v31, v13
	v_pk_add_f32 v[12:13], v[0:1], v[30:31] neg_lo:[0,1] neg_hi:[0,1]
	v_pk_fma_f32 v[4:5], v[4:5], 2.0, v[10:11] op_sel_hi:[1,0,1] neg_lo:[0,0,1] neg_hi:[0,0,1]
	v_pk_fma_f32 v[0:1], v[0:1], 2.0, v[12:13] op_sel_hi:[1,0,1] neg_lo:[0,0,1] neg_hi:[0,0,1]
	ds_write2_b64 v16, v[14:15], v[18:19] offset0:110 offset1:144
	ds_write_b64 v104, v[24:25] offset:544
	ds_write_b64 v110, v[22:23] offset:1904
	;; [unrolled: 1-line block ×10, first 2 shown]
	s_waitcnt lgkmcnt(0)
	s_barrier
	s_and_b64 exec, exec, vcc
	s_cbranch_execz .LBB0_15
; %bb.14:
	global_load_dwordx2 v[2:3], v179, s[2:3]
	ds_read_b64 v[6:7], v104
	v_mad_u64_u32 v[4:5], s[0:1], s6, v188, 0
	v_mov_b32_e32 v10, v5
	v_mad_u64_u32 v[10:11], s[6:7], s7, v188, v[10:11]
	v_mov_b32_e32 v0, s8
	v_mov_b32_e32 v1, s9
	;; [unrolled: 1-line block ×3, first 2 shown]
	v_mad_u64_u32 v[8:9], s[8:9], s4, v44, 0
	v_lshl_add_u64 v[0:1], v[4:5], 3, v[0:1]
	s_mov_b32 s0, 0x1135c811
	v_mov_b32_e32 v12, v9
	s_mov_b32 s1, 0x3f6135c8
	v_mad_u64_u32 v[12:13], s[6:7], s5, v44, v[12:13]
	v_mov_b32_e32 v9, v12
	v_lshl_add_u64 v[8:9], v[8:9], 3, v[0:1]
	v_lshl_add_u32 v12, v186, 3, v165
	v_mov_b32_e32 v13, 0xe0
	s_mul_i32 s6, s5, 0xe0
	v_or_b32_e32 v11, 0xe0, v44
	s_mul_i32 s7, s5, 0x1c0
	s_waitcnt vmcnt(0) lgkmcnt(0)
	v_mul_f32_e32 v4, v7, v3
	v_mul_f32_e32 v3, v6, v3
	v_fmac_f32_e32 v4, v6, v2
	v_fma_f32 v5, v2, v7, -v3
	v_cvt_f64_f32_e32 v[2:3], v4
	v_cvt_f64_f32_e32 v[4:5], v5
	v_mul_f64 v[2:3], v[2:3], s[0:1]
	v_mul_f64 v[4:5], v[4:5], s[0:1]
	v_cvt_f32_f64_e32 v2, v[2:3]
	v_cvt_f32_f64_e32 v3, v[4:5]
	global_store_dwordx2 v[8:9], v[2:3], off
	global_load_dwordx2 v[6:7], v179, s[2:3] offset:224
	ds_read2_b64 v[2:5], v12 offset0:28 offset1:56
	v_mad_u64_u32 v[8:9], s[8:9], s4, v13, v[8:9]
	v_add_u32_e32 v9, s6, v9
	s_waitcnt vmcnt(0) lgkmcnt(0)
	v_mul_f32_e32 v10, v3, v7
	v_mul_f32_e32 v7, v2, v7
	v_fmac_f32_e32 v10, v2, v6
	v_fma_f32 v6, v6, v3, -v7
	v_cvt_f64_f32_e32 v[2:3], v10
	v_cvt_f64_f32_e32 v[6:7], v6
	v_mul_f64 v[2:3], v[2:3], s[0:1]
	v_mul_f64 v[6:7], v[6:7], s[0:1]
	v_cvt_f32_f64_e32 v2, v[2:3]
	v_cvt_f32_f64_e32 v3, v[6:7]
	global_store_dwordx2 v[8:9], v[2:3], off
	global_load_dwordx2 v[2:3], v179, s[2:3] offset:448
	v_mad_u64_u32 v[6:7], s[8:9], s4, v13, v[8:9]
	v_add_u32_e32 v7, s6, v7
	s_waitcnt vmcnt(0)
	v_mul_f32_e32 v8, v5, v3
	v_mul_f32_e32 v3, v4, v3
	v_fmac_f32_e32 v8, v4, v2
	v_fma_f32 v4, v2, v5, -v3
	v_cvt_f64_f32_e32 v[2:3], v8
	v_cvt_f64_f32_e32 v[4:5], v4
	v_mul_f64 v[2:3], v[2:3], s[0:1]
	v_mul_f64 v[4:5], v[4:5], s[0:1]
	v_cvt_f32_f64_e32 v2, v[2:3]
	v_cvt_f32_f64_e32 v3, v[4:5]
	global_store_dwordx2 v[6:7], v[2:3], off
	global_load_dwordx2 v[8:9], v179, s[2:3] offset:672
	ds_read2_b64 v[2:5], v12 offset0:84 offset1:112
	v_mad_u64_u32 v[6:7], s[8:9], s4, v13, v[6:7]
	v_add_u32_e32 v7, s6, v7
	s_waitcnt vmcnt(0) lgkmcnt(0)
	v_mul_f32_e32 v10, v3, v9
	v_mul_f32_e32 v9, v2, v9
	v_fmac_f32_e32 v10, v2, v8
	v_fma_f32 v8, v8, v3, -v9
	v_cvt_f64_f32_e32 v[2:3], v10
	v_cvt_f64_f32_e32 v[8:9], v8
	v_mul_f64 v[2:3], v[2:3], s[0:1]
	v_mul_f64 v[8:9], v[8:9], s[0:1]
	v_cvt_f32_f64_e32 v2, v[2:3]
	v_cvt_f32_f64_e32 v3, v[8:9]
	global_store_dwordx2 v[6:7], v[2:3], off
	global_load_dwordx2 v[2:3], v179, s[2:3] offset:896
	v_mad_u64_u32 v[6:7], s[8:9], s4, v13, v[6:7]
	v_add_u32_e32 v7, s6, v7
	s_waitcnt vmcnt(0)
	;; [unrolled: 31-line block ×3, first 2 shown]
	v_mul_f32_e32 v8, v5, v3
	v_mul_f32_e32 v3, v4, v3
	v_fmac_f32_e32 v8, v4, v2
	v_fma_f32 v4, v2, v5, -v3
	v_cvt_f64_f32_e32 v[2:3], v8
	v_cvt_f64_f32_e32 v[4:5], v4
	v_mul_f64 v[2:3], v[2:3], s[0:1]
	v_mul_f64 v[4:5], v[4:5], s[0:1]
	v_cvt_f32_f64_e32 v2, v[2:3]
	v_cvt_f32_f64_e32 v3, v[4:5]
	global_store_dwordx2 v[6:7], v[2:3], off
	global_load_dwordx2 v[8:9], v179, s[2:3] offset:1568
	ds_read2_b64 v[2:5], v12 offset0:196 offset1:224
	v_mad_u64_u32 v[6:7], s[8:9], s4, v13, v[6:7]
	v_add_u32_e32 v7, s6, v7
	s_waitcnt vmcnt(0) lgkmcnt(0)
	v_mul_f32_e32 v10, v3, v9
	v_mul_f32_e32 v9, v2, v9
	v_fmac_f32_e32 v10, v2, v8
	v_fma_f32 v8, v8, v3, -v9
	v_cvt_f64_f32_e32 v[2:3], v10
	v_cvt_f64_f32_e32 v[8:9], v8
	v_mul_f64 v[2:3], v[2:3], s[0:1]
	v_mul_f64 v[8:9], v[8:9], s[0:1]
	v_cvt_f32_f64_e32 v2, v[2:3]
	v_cvt_f32_f64_e32 v3, v[8:9]
	global_store_dwordx2 v[6:7], v[2:3], off
	global_load_dwordx2 v[2:3], v179, s[2:3] offset:1792
	v_mad_u64_u32 v[8:9], s[8:9], s4, v11, 0
	v_mov_b32_e32 v10, v9
	v_mad_u64_u32 v[10:11], s[8:9], s5, v11, v[10:11]
	v_mov_b32_e32 v9, v10
	v_lshl_add_u64 v[8:9], v[8:9], 3, v[0:1]
	s_waitcnt vmcnt(0)
	v_mul_f32_e32 v10, v5, v3
	v_mul_f32_e32 v3, v4, v3
	v_fmac_f32_e32 v10, v4, v2
	v_fma_f32 v4, v2, v5, -v3
	v_cvt_f64_f32_e32 v[2:3], v10
	v_cvt_f64_f32_e32 v[4:5], v4
	v_mul_f64 v[2:3], v[2:3], s[0:1]
	v_mul_f64 v[4:5], v[4:5], s[0:1]
	v_cvt_f32_f64_e32 v2, v[2:3]
	v_cvt_f32_f64_e32 v3, v[4:5]
	global_store_dwordx2 v[8:9], v[2:3], off
	global_load_dwordx2 v[8:9], v179, s[2:3] offset:2016
	v_add_u32_e32 v2, 0x400, v12
	ds_read2_b64 v[2:5], v2 offset0:124 offset1:152
	v_mov_b32_e32 v10, 0x1c0
	v_mad_u64_u32 v[6:7], s[8:9], s4, v10, v[6:7]
	v_add_u32_e32 v7, s7, v7
	s_waitcnt vmcnt(0) lgkmcnt(0)
	v_mul_f32_e32 v10, v3, v9
	v_mul_f32_e32 v9, v2, v9
	v_fmac_f32_e32 v10, v2, v8
	v_fma_f32 v8, v8, v3, -v9
	v_cvt_f64_f32_e32 v[2:3], v10
	v_cvt_f64_f32_e32 v[8:9], v8
	v_mul_f64 v[2:3], v[2:3], s[0:1]
	v_mul_f64 v[8:9], v[8:9], s[0:1]
	v_cvt_f32_f64_e32 v2, v[2:3]
	v_cvt_f32_f64_e32 v3, v[8:9]
	global_store_dwordx2 v[6:7], v[2:3], off
	global_load_dwordx2 v[2:3], v179, s[2:3] offset:2240
	v_mad_u64_u32 v[6:7], s[8:9], s4, v13, v[6:7]
	v_add_u32_e32 v7, s6, v7
	v_add_u32_e32 v10, 0x800, v12
	s_waitcnt vmcnt(0)
	v_mul_f32_e32 v8, v5, v3
	v_mul_f32_e32 v3, v4, v3
	v_fmac_f32_e32 v8, v4, v2
	v_fma_f32 v4, v2, v5, -v3
	v_cvt_f64_f32_e32 v[2:3], v8
	v_cvt_f64_f32_e32 v[4:5], v4
	v_mul_f64 v[2:3], v[2:3], s[0:1]
	v_mul_f64 v[4:5], v[4:5], s[0:1]
	v_cvt_f32_f64_e32 v2, v[2:3]
	v_cvt_f32_f64_e32 v3, v[4:5]
	global_store_dwordx2 v[6:7], v[2:3], off
	global_load_dwordx2 v[8:9], v179, s[2:3] offset:2464
	ds_read2_b64 v[2:5], v10 offset0:52 offset1:80
	v_mad_u64_u32 v[6:7], s[8:9], s4, v13, v[6:7]
	v_add_u32_e32 v7, s6, v7
	s_waitcnt vmcnt(0) lgkmcnt(0)
	v_mul_f32_e32 v11, v3, v9
	v_mul_f32_e32 v9, v2, v9
	v_fmac_f32_e32 v11, v2, v8
	v_fma_f32 v8, v8, v3, -v9
	v_cvt_f64_f32_e32 v[2:3], v11
	v_cvt_f64_f32_e32 v[8:9], v8
	v_mul_f64 v[2:3], v[2:3], s[0:1]
	v_mul_f64 v[8:9], v[8:9], s[0:1]
	v_cvt_f32_f64_e32 v2, v[2:3]
	v_cvt_f32_f64_e32 v3, v[8:9]
	global_store_dwordx2 v[6:7], v[2:3], off
	global_load_dwordx2 v[2:3], v179, s[2:3] offset:2688
	v_mad_u64_u32 v[6:7], s[8:9], s4, v13, v[6:7]
	v_add_u32_e32 v7, s6, v7
	s_waitcnt vmcnt(0)
	v_mul_f32_e32 v8, v5, v3
	v_mul_f32_e32 v3, v4, v3
	v_fmac_f32_e32 v8, v4, v2
	v_fma_f32 v4, v2, v5, -v3
	v_cvt_f64_f32_e32 v[2:3], v8
	v_cvt_f64_f32_e32 v[4:5], v4
	v_mul_f64 v[2:3], v[2:3], s[0:1]
	v_mul_f64 v[4:5], v[4:5], s[0:1]
	v_cvt_f32_f64_e32 v2, v[2:3]
	v_cvt_f32_f64_e32 v3, v[4:5]
	global_store_dwordx2 v[6:7], v[2:3], off
	global_load_dwordx2 v[8:9], v179, s[2:3] offset:2912
	ds_read2_b64 v[2:5], v10 offset0:108 offset1:136
	v_mad_u64_u32 v[6:7], s[8:9], s4, v13, v[6:7]
	v_add_u32_e32 v7, s6, v7
	s_waitcnt vmcnt(0) lgkmcnt(0)
	v_mul_f32_e32 v11, v3, v9
	v_mul_f32_e32 v9, v2, v9
	v_fmac_f32_e32 v11, v2, v8
	v_fma_f32 v8, v8, v3, -v9
	v_cvt_f64_f32_e32 v[2:3], v11
	v_cvt_f64_f32_e32 v[8:9], v8
	v_mul_f64 v[2:3], v[2:3], s[0:1]
	v_mul_f64 v[8:9], v[8:9], s[0:1]
	v_cvt_f32_f64_e32 v2, v[2:3]
	v_cvt_f32_f64_e32 v3, v[8:9]
	global_store_dwordx2 v[6:7], v[2:3], off
	global_load_dwordx2 v[2:3], v179, s[2:3] offset:3136
	v_mad_u64_u32 v[6:7], s[8:9], s4, v13, v[6:7]
	v_add_u32_e32 v7, s6, v7
	s_waitcnt vmcnt(0)
	v_mul_f32_e32 v8, v5, v3
	v_mul_f32_e32 v3, v4, v3
	v_fmac_f32_e32 v8, v4, v2
	v_fma_f32 v4, v2, v5, -v3
	v_cvt_f64_f32_e32 v[2:3], v8
	v_cvt_f64_f32_e32 v[4:5], v4
	v_mul_f64 v[2:3], v[2:3], s[0:1]
	v_mul_f64 v[4:5], v[4:5], s[0:1]
	v_cvt_f32_f64_e32 v2, v[2:3]
	v_cvt_f32_f64_e32 v3, v[4:5]
	global_store_dwordx2 v[6:7], v[2:3], off
	global_load_dwordx2 v[8:9], v179, s[2:3] offset:3360
	ds_read2_b64 v[2:5], v10 offset0:164 offset1:192
	v_mad_u64_u32 v[6:7], s[8:9], s4, v13, v[6:7]
	v_add_u32_e32 v7, s6, v7
	s_waitcnt vmcnt(0) lgkmcnt(0)
	v_mul_f32_e32 v10, v3, v9
	v_mul_f32_e32 v9, v2, v9
	v_fmac_f32_e32 v10, v2, v8
	v_fma_f32 v8, v8, v3, -v9
	v_cvt_f64_f32_e32 v[2:3], v10
	v_cvt_f64_f32_e32 v[8:9], v8
	v_mul_f64 v[2:3], v[2:3], s[0:1]
	v_mul_f64 v[8:9], v[8:9], s[0:1]
	v_cvt_f32_f64_e32 v2, v[2:3]
	v_cvt_f32_f64_e32 v3, v[8:9]
	global_store_dwordx2 v[6:7], v[2:3], off
	global_load_dwordx2 v[2:3], v179, s[2:3] offset:3584
	v_or_b32_e32 v9, 0x1c0, v44
	v_mad_u64_u32 v[6:7], s[2:3], s4, v9, 0
	v_mov_b32_e32 v8, v7
	v_mad_u64_u32 v[8:9], s[2:3], s5, v9, v[8:9]
	v_mov_b32_e32 v7, v8
	v_lshl_add_u64 v[0:1], v[6:7], 3, v[0:1]
	s_waitcnt vmcnt(0)
	v_mul_f32_e32 v8, v5, v3
	v_mul_f32_e32 v3, v4, v3
	v_fmac_f32_e32 v8, v4, v2
	v_fma_f32 v4, v2, v5, -v3
	v_cvt_f64_f32_e32 v[2:3], v8
	v_cvt_f64_f32_e32 v[4:5], v4
	v_mul_f64 v[2:3], v[2:3], s[0:1]
	v_mul_f64 v[4:5], v[4:5], s[0:1]
	v_cvt_f32_f64_e32 v2, v[2:3]
	v_cvt_f32_f64_e32 v3, v[4:5]
	global_store_dwordx2 v[0:1], v[2:3], off
.LBB0_15:
	s_endpgm
	.section	.rodata,"a",@progbits
	.p2align	6, 0x0
	.amdhsa_kernel bluestein_single_fwd_len476_dim1_sp_op_CI_CI
		.amdhsa_group_segment_fixed_size 11424
		.amdhsa_private_segment_fixed_size 0
		.amdhsa_kernarg_size 104
		.amdhsa_user_sgpr_count 2
		.amdhsa_user_sgpr_dispatch_ptr 0
		.amdhsa_user_sgpr_queue_ptr 0
		.amdhsa_user_sgpr_kernarg_segment_ptr 1
		.amdhsa_user_sgpr_dispatch_id 0
		.amdhsa_user_sgpr_kernarg_preload_length 0
		.amdhsa_user_sgpr_kernarg_preload_offset 0
		.amdhsa_user_sgpr_private_segment_size 0
		.amdhsa_uses_dynamic_stack 0
		.amdhsa_enable_private_segment 0
		.amdhsa_system_sgpr_workgroup_id_x 1
		.amdhsa_system_sgpr_workgroup_id_y 0
		.amdhsa_system_sgpr_workgroup_id_z 0
		.amdhsa_system_sgpr_workgroup_info 0
		.amdhsa_system_vgpr_workitem_id 0
		.amdhsa_next_free_vgpr 292
		.amdhsa_next_free_sgpr 56
		.amdhsa_accum_offset 256
		.amdhsa_reserve_vcc 1
		.amdhsa_float_round_mode_32 0
		.amdhsa_float_round_mode_16_64 0
		.amdhsa_float_denorm_mode_32 3
		.amdhsa_float_denorm_mode_16_64 3
		.amdhsa_dx10_clamp 1
		.amdhsa_ieee_mode 1
		.amdhsa_fp16_overflow 0
		.amdhsa_tg_split 0
		.amdhsa_exception_fp_ieee_invalid_op 0
		.amdhsa_exception_fp_denorm_src 0
		.amdhsa_exception_fp_ieee_div_zero 0
		.amdhsa_exception_fp_ieee_overflow 0
		.amdhsa_exception_fp_ieee_underflow 0
		.amdhsa_exception_fp_ieee_inexact 0
		.amdhsa_exception_int_div_zero 0
	.end_amdhsa_kernel
	.text
.Lfunc_end0:
	.size	bluestein_single_fwd_len476_dim1_sp_op_CI_CI, .Lfunc_end0-bluestein_single_fwd_len476_dim1_sp_op_CI_CI
                                        ; -- End function
	.section	.AMDGPU.csdata,"",@progbits
; Kernel info:
; codeLenInByte = 18656
; NumSgprs: 62
; NumVgprs: 256
; NumAgprs: 36
; TotalNumVgprs: 292
; ScratchSize: 0
; MemoryBound: 0
; FloatMode: 240
; IeeeMode: 1
; LDSByteSize: 11424 bytes/workgroup (compile time only)
; SGPRBlocks: 7
; VGPRBlocks: 36
; NumSGPRsForWavesPerEU: 62
; NumVGPRsForWavesPerEU: 292
; AccumOffset: 256
; Occupancy: 1
; WaveLimiterHint : 1
; COMPUTE_PGM_RSRC2:SCRATCH_EN: 0
; COMPUTE_PGM_RSRC2:USER_SGPR: 2
; COMPUTE_PGM_RSRC2:TRAP_HANDLER: 0
; COMPUTE_PGM_RSRC2:TGID_X_EN: 1
; COMPUTE_PGM_RSRC2:TGID_Y_EN: 0
; COMPUTE_PGM_RSRC2:TGID_Z_EN: 0
; COMPUTE_PGM_RSRC2:TIDIG_COMP_CNT: 0
; COMPUTE_PGM_RSRC3_GFX90A:ACCUM_OFFSET: 63
; COMPUTE_PGM_RSRC3_GFX90A:TG_SPLIT: 0
	.text
	.p2alignl 6, 3212836864
	.fill 256, 4, 3212836864
	.type	__hip_cuid_24aab146b7287715,@object ; @__hip_cuid_24aab146b7287715
	.section	.bss,"aw",@nobits
	.globl	__hip_cuid_24aab146b7287715
__hip_cuid_24aab146b7287715:
	.byte	0                               ; 0x0
	.size	__hip_cuid_24aab146b7287715, 1

	.ident	"AMD clang version 19.0.0git (https://github.com/RadeonOpenCompute/llvm-project roc-6.4.0 25133 c7fe45cf4b819c5991fe208aaa96edf142730f1d)"
	.section	".note.GNU-stack","",@progbits
	.addrsig
	.addrsig_sym __hip_cuid_24aab146b7287715
	.amdgpu_metadata
---
amdhsa.kernels:
  - .agpr_count:     36
    .args:
      - .actual_access:  read_only
        .address_space:  global
        .offset:         0
        .size:           8
        .value_kind:     global_buffer
      - .actual_access:  read_only
        .address_space:  global
        .offset:         8
        .size:           8
        .value_kind:     global_buffer
      - .actual_access:  read_only
        .address_space:  global
        .offset:         16
        .size:           8
        .value_kind:     global_buffer
      - .actual_access:  read_only
        .address_space:  global
        .offset:         24
        .size:           8
        .value_kind:     global_buffer
      - .actual_access:  read_only
        .address_space:  global
        .offset:         32
        .size:           8
        .value_kind:     global_buffer
      - .offset:         40
        .size:           8
        .value_kind:     by_value
      - .address_space:  global
        .offset:         48
        .size:           8
        .value_kind:     global_buffer
      - .address_space:  global
        .offset:         56
        .size:           8
        .value_kind:     global_buffer
      - .address_space:  global
        .offset:         64
        .size:           8
        .value_kind:     global_buffer
      - .address_space:  global
        .offset:         72
        .size:           8
        .value_kind:     global_buffer
      - .offset:         80
        .size:           4
        .value_kind:     by_value
      - .address_space:  global
        .offset:         88
        .size:           8
        .value_kind:     global_buffer
      - .address_space:  global
        .offset:         96
        .size:           8
        .value_kind:     global_buffer
    .group_segment_fixed_size: 11424
    .kernarg_segment_align: 8
    .kernarg_segment_size: 104
    .language:       OpenCL C
    .language_version:
      - 2
      - 0
    .max_flat_workgroup_size: 102
    .name:           bluestein_single_fwd_len476_dim1_sp_op_CI_CI
    .private_segment_fixed_size: 0
    .sgpr_count:     62
    .sgpr_spill_count: 0
    .symbol:         bluestein_single_fwd_len476_dim1_sp_op_CI_CI.kd
    .uniform_work_group_size: 1
    .uses_dynamic_stack: false
    .vgpr_count:     292
    .vgpr_spill_count: 0
    .wavefront_size: 64
amdhsa.target:   amdgcn-amd-amdhsa--gfx950
amdhsa.version:
  - 1
  - 2
...

	.end_amdgpu_metadata
